;; amdgpu-corpus repo=ROCm/rocFFT kind=compiled arch=gfx1201 opt=O3
	.text
	.amdgcn_target "amdgcn-amd-amdhsa--gfx1201"
	.amdhsa_code_object_version 6
	.protected	bluestein_single_fwd_len221_dim1_dp_op_CI_CI ; -- Begin function bluestein_single_fwd_len221_dim1_dp_op_CI_CI
	.globl	bluestein_single_fwd_len221_dim1_dp_op_CI_CI
	.p2align	8
	.type	bluestein_single_fwd_len221_dim1_dp_op_CI_CI,@function
bluestein_single_fwd_len221_dim1_dp_op_CI_CI: ; @bluestein_single_fwd_len221_dim1_dp_op_CI_CI
; %bb.0:
	s_load_b128 s[4:7], s[0:1], 0x28
	v_mul_u32_u24_e32 v1, 0xf10, v0
	s_mov_b32 s2, exec_lo
	s_delay_alu instid0(VALU_DEP_1) | instskip(NEXT) | instid1(VALU_DEP_1)
	v_lshrrev_b32_e32 v1, 16, v1
	v_mad_co_u64_u32 v[4:5], null, ttmp9, 7, v[1:2]
	v_mov_b32_e32 v5, 0
	s_wait_kmcnt 0x0
	s_delay_alu instid0(VALU_DEP_1)
	v_cmpx_gt_u64_e64 s[4:5], v[4:5]
	s_cbranch_execz .LBB0_15
; %bb.1:
	v_mul_hi_u32 v2, 0x24924925, v4
	v_mul_lo_u16 v1, v1, 17
	s_clause 0x1
	s_load_b64 s[4:5], s[0:1], 0x0
	s_load_b64 s[12:13], s[0:1], 0x38
	s_delay_alu instid0(VALU_DEP_1) | instskip(SKIP_1) | instid1(VALU_DEP_4)
	v_sub_nc_u16 v0, v0, v1
	v_mov_b32_e32 v1, v4
	v_sub_nc_u32_e32 v3, v4, v2
	s_delay_alu instid0(VALU_DEP_3) | instskip(SKIP_1) | instid1(VALU_DEP_3)
	v_and_b32_e32 v255, 0xffff, v0
	v_cmp_gt_u16_e32 vcc_lo, 13, v0
	v_lshrrev_b32_e32 v3, 1, v3
	s_delay_alu instid0(VALU_DEP_1) | instskip(NEXT) | instid1(VALU_DEP_1)
	v_add_nc_u32_e32 v2, v3, v2
	v_lshrrev_b32_e32 v2, 2, v2
	s_delay_alu instid0(VALU_DEP_1) | instskip(SKIP_2) | instid1(VALU_DEP_1)
	v_mul_lo_u32 v2, v2, 7
	scratch_store_b64 off, v[1:2], off      ; 8-byte Folded Spill
	v_sub_nc_u32_e32 v1, v4, v2
	v_mul_u32_u24_e32 v128, 0xdd, v1
	s_delay_alu instid0(VALU_DEP_1)
	v_lshlrev_b32_e32 v0, 4, v128
	scratch_store_b32 off, v0, off offset:16 ; 4-byte Folded Spill
	v_or_b32_e32 v0, 0xd0, v255
	scratch_store_b32 off, v0, off offset:220 ; 4-byte Folded Spill
	s_and_saveexec_b32 s3, vcc_lo
	s_cbranch_execz .LBB0_3
; %bb.2:
	scratch_load_b64 v[0:1], off, off       ; 8-byte Folded Reload
	s_load_b64 s[8:9], s[0:1], 0x18
	v_or_b32_e32 v66, 0xd0, v255
	v_mov_b32_e32 v173, v128
	s_wait_kmcnt 0x0
	s_load_b128 s[8:11], s[8:9], 0x0
	s_wait_kmcnt 0x0
	v_mad_co_u64_u32 v[60:61], null, s8, v255, 0
	v_lshlrev_b32_e32 v128, 4, v255
	v_mad_co_u64_u32 v[62:63], null, s8, v66, 0
	s_wait_loadcnt 0x0
	s_delay_alu instid0(VALU_DEP_3)
	v_dual_mov_b32 v33, v61 :: v_dual_mov_b32 v34, v0
	s_clause 0x7
	global_load_b128 v[0:3], v128, s[4:5]
	global_load_b128 v[4:7], v128, s[4:5] offset:208
	global_load_b128 v[8:11], v128, s[4:5] offset:416
	global_load_b128 v[12:15], v128, s[4:5] offset:624
	global_load_b128 v[16:19], v128, s[4:5] offset:832
	global_load_b128 v[20:23], v128, s[4:5] offset:1040
	global_load_b128 v[24:27], v128, s[4:5] offset:1248
	global_load_b128 v[28:31], v128, s[4:5] offset:1456
	v_mad_co_u64_u32 v[56:57], null, s10, v34, 0
	v_mad_co_u64_u32 v[58:59], null, s9, v255, v[33:34]
	s_delay_alu instid0(VALU_DEP_1) | instskip(NEXT) | instid1(VALU_DEP_1)
	v_dual_mov_b32 v32, v57 :: v_dual_mov_b32 v61, v58
	v_mad_co_u64_u32 v[48:49], null, s11, v34, v[32:33]
	s_delay_alu instid0(VALU_DEP_2)
	v_lshlrev_b64_e32 v[60:61], 4, v[60:61]
	s_clause 0x3
	global_load_b128 v[32:35], v128, s[4:5] offset:1664
	global_load_b128 v[36:39], v128, s[4:5] offset:1872
	;; [unrolled: 1-line block ×4, first 2 shown]
	v_mov_b32_e32 v57, v48
	s_clause 0x1
	global_load_b128 v[48:51], v128, s[4:5] offset:2496
	global_load_b128 v[52:55], v128, s[4:5] offset:2704
	v_lshlrev_b64_e32 v[64:65], 4, v[56:57]
	global_load_b128 v[56:59], v128, s[4:5] offset:3328
	v_mad_co_u64_u32 v[66:67], null, s9, v66, v[63:64]
	v_add_co_u32 v67, s2, s6, v64
	s_delay_alu instid0(VALU_DEP_1) | instskip(SKIP_1) | instid1(VALU_DEP_2)
	v_add_co_ci_u32_e64 v70, s2, s7, v65, s2
	s_mul_u64 s[6:7], s[8:9], 0xd0
	v_add_co_u32 v64, s2, v67, v60
	s_wait_alu 0xf1ff
	s_delay_alu instid0(VALU_DEP_2)
	v_add_co_ci_u32_e64 v65, s2, v70, v61, s2
	v_mov_b32_e32 v63, v66
	s_wait_alu 0xfffe
	v_add_co_u32 v68, s2, v64, s6
	s_wait_alu 0xf1ff
	v_add_co_ci_u32_e64 v69, s2, s7, v65, s2
	v_lshlrev_b64_e32 v[60:61], 4, v[62:63]
	s_delay_alu instid0(VALU_DEP_3) | instskip(SKIP_1) | instid1(VALU_DEP_3)
	v_add_co_u32 v72, s2, v68, s6
	s_wait_alu 0xf1ff
	v_add_co_ci_u32_e64 v73, s2, s7, v69, s2
	s_delay_alu instid0(VALU_DEP_3)
	v_add_co_u32 v60, s2, v67, v60
	s_wait_alu 0xf1ff
	v_add_co_ci_u32_e64 v61, s2, v70, v61, s2
	v_add_co_u32 v76, s2, v72, s6
	s_wait_alu 0xf1ff
	v_add_co_ci_u32_e64 v77, s2, s7, v73, s2
	global_load_b128 v[60:63], v[60:61], off
	v_add_co_u32 v80, s2, v76, s6
	s_wait_alu 0xf1ff
	v_add_co_ci_u32_e64 v81, s2, s7, v77, s2
	s_clause 0x1
	global_load_b128 v[64:67], v[64:65], off
	global_load_b128 v[68:71], v[68:69], off
	v_add_co_u32 v84, s2, v80, s6
	s_wait_alu 0xf1ff
	v_add_co_ci_u32_e64 v85, s2, s7, v81, s2
	s_clause 0x1
	global_load_b128 v[72:75], v[72:73], off
	global_load_b128 v[76:79], v[76:77], off
	v_add_co_u32 v88, s2, v84, s6
	s_wait_alu 0xf1ff
	v_add_co_ci_u32_e64 v89, s2, s7, v85, s2
	global_load_b128 v[80:83], v[80:81], off
	v_add_co_u32 v92, s2, v88, s6
	s_wait_alu 0xf1ff
	v_add_co_ci_u32_e64 v93, s2, s7, v89, s2
	;; [unrolled: 4-line block ×10, first 2 shown]
	global_load_b128 v[116:119], v[116:117], off
	global_load_b128 v[120:123], v[120:121], off
	s_clause 0x1
	global_load_b128 v[124:127], v128, s[4:5] offset:2912
	global_load_b128 v[129:132], v128, s[4:5] offset:3120
	global_load_b128 v[133:136], v[133:134], off
	s_wait_loadcnt 0x12
	v_mul_f64_e32 v[139:140], v[62:63], v[58:59]
	v_mul_f64_e32 v[171:172], v[60:61], v[58:59]
	s_wait_loadcnt 0x11
	v_mul_f64_e32 v[137:138], v[66:67], v[2:3]
	v_mul_f64_e32 v[2:3], v[64:65], v[2:3]
	;; [unrolled: 3-line block ×11, first 2 shown]
	v_fma_f64 v[64:65], v[64:65], v[0:1], v[137:138]
	v_fma_f64 v[66:67], v[66:67], v[0:1], -v[2:3]
	v_fma_f64 v[0:1], v[60:61], v[56:57], v[139:140]
	s_wait_loadcnt 0x7
	v_mul_f64_e32 v[159:160], v[106:107], v[42:43]
	v_mul_f64_e32 v[42:43], v[104:105], v[42:43]
	v_fma_f64 v[58:59], v[68:69], v[4:5], v[141:142]
	v_fma_f64 v[60:61], v[70:71], v[4:5], -v[6:7]
	v_fma_f64 v[4:5], v[72:73], v[8:9], v[143:144]
	s_wait_loadcnt 0x6
	v_mul_f64_e32 v[161:162], v[110:111], v[46:47]
	v_mul_f64_e32 v[46:47], v[108:109], v[46:47]
	v_fma_f64 v[6:7], v[74:75], v[8:9], -v[10:11]
	v_fma_f64 v[8:9], v[76:77], v[12:13], v[145:146]
	v_fma_f64 v[10:11], v[78:79], v[12:13], -v[14:15]
	s_wait_loadcnt 0x5
	v_mul_f64_e32 v[163:164], v[114:115], v[50:51]
	v_mul_f64_e32 v[50:51], v[112:113], v[50:51]
	s_wait_loadcnt 0x4
	v_mul_f64_e32 v[165:166], v[118:119], v[54:55]
	v_mul_f64_e32 v[54:55], v[116:117], v[54:55]
	;; [unrolled: 3-line block ×4, first 2 shown]
	v_fma_f64 v[12:13], v[80:81], v[16:17], v[147:148]
	v_fma_f64 v[14:15], v[82:83], v[16:17], -v[18:19]
	v_fma_f64 v[16:17], v[84:85], v[20:21], v[149:150]
	v_fma_f64 v[18:19], v[86:87], v[20:21], -v[22:23]
	;; [unrolled: 2-line block ×4, first 2 shown]
	v_fma_f64 v[2:3], v[62:63], v[56:57], -v[171:172]
	v_lshlrev_b32_e32 v57, 4, v173
	v_fma_f64 v[28:29], v[96:97], v[32:33], v[155:156]
	v_fma_f64 v[30:31], v[98:99], v[32:33], -v[34:35]
	s_delay_alu instid0(VALU_DEP_3)
	v_lshl_add_u32 v56, v255, 4, v57
	v_fma_f64 v[32:33], v[100:101], v[36:37], v[157:158]
	v_fma_f64 v[34:35], v[102:103], v[36:37], -v[38:39]
	v_add_nc_u32_e32 v57, v57, v128
	v_mov_b32_e32 v128, v173
	v_fma_f64 v[36:37], v[104:105], v[40:41], v[159:160]
	v_fma_f64 v[38:39], v[106:107], v[40:41], -v[42:43]
	v_fma_f64 v[40:41], v[108:109], v[44:45], v[161:162]
	v_fma_f64 v[42:43], v[110:111], v[44:45], -v[46:47]
	;; [unrolled: 2-line block ×6, first 2 shown]
	ds_store_b128 v56, v[64:67]
	ds_store_b128 v57, v[58:61] offset:208
	ds_store_b128 v57, v[4:7] offset:416
	;; [unrolled: 1-line block ×16, first 2 shown]
.LBB0_3:
	s_or_b32 exec_lo, exec_lo, s3
	s_clause 0x1
	s_load_b64 s[2:3], s[0:1], 0x20
	s_load_b64 s[6:7], s[0:1], 0x8
	global_wb scope:SCOPE_SE
	s_wait_storecnt_dscnt 0x0
	s_wait_kmcnt 0x0
	s_barrier_signal -1
	s_barrier_wait -1
	global_inv scope:SCOPE_SE
                                        ; implicit-def: $vgpr16_vgpr17
                                        ; implicit-def: $vgpr32_vgpr33
                                        ; implicit-def: $vgpr36_vgpr37
                                        ; implicit-def: $vgpr40_vgpr41
                                        ; implicit-def: $vgpr44_vgpr45
                                        ; implicit-def: $vgpr48_vgpr49
                                        ; implicit-def: $vgpr52_vgpr53
                                        ; implicit-def: $vgpr56_vgpr57
                                        ; implicit-def: $vgpr64_vgpr65
                                        ; implicit-def: $vgpr68_vgpr69
                                        ; implicit-def: $vgpr72_vgpr73
                                        ; implicit-def: $vgpr76_vgpr77
                                        ; implicit-def: $vgpr80_vgpr81
                                        ; implicit-def: $vgpr60_vgpr61
                                        ; implicit-def: $vgpr28_vgpr29
                                        ; implicit-def: $vgpr24_vgpr25
                                        ; implicit-def: $vgpr20_vgpr21
	s_and_saveexec_b32 s0, vcc_lo
	s_cbranch_execz .LBB0_5
; %bb.4:
	v_lshlrev_b32_e32 v0, 4, v255
	s_delay_alu instid0(VALU_DEP_1)
	v_lshl_add_u32 v0, v128, 4, v0
	ds_load_b128 v[16:19], v0
	ds_load_b128 v[32:35], v0 offset:208
	ds_load_b128 v[36:39], v0 offset:416
	;; [unrolled: 1-line block ×16, first 2 shown]
.LBB0_5:
	s_wait_alu 0xfffe
	s_or_b32 exec_lo, exec_lo, s0
	s_wait_dscnt 0x0
	v_add_f64_e64 v[167:168], v[34:35], -v[22:23]
	s_mov_b32 s0, 0x5d8e7cdc
	s_mov_b32 s1, 0xbfd71e95
	v_add_f64_e32 v[161:162], v[32:33], v[20:21]
	v_add_f64_e64 v[98:99], v[38:39], -v[26:27]
	s_mov_b32 s8, 0x370991
	s_mov_b32 s10, 0x2a9d6da3
	;; [unrolled: 1-line block ×4, first 2 shown]
	v_add_f64_e32 v[84:85], v[36:37], v[24:25]
	v_add_f64_e64 v[179:180], v[32:33], -v[20:21]
	v_add_f64_e64 v[96:97], v[36:37], -v[24:25]
	s_mov_b32 s14, 0x75d4884
	s_mov_b32 s15, 0x3fe7a5f6
	v_add_f64_e32 v[175:176], v[34:35], v[22:23]
	v_add_f64_e32 v[92:93], v[38:39], v[26:27]
	v_add_f64_e64 v[110:111], v[42:43], -v[30:31]
	s_mov_b32 s18, 0x7c9e640b
	s_mov_b32 s19, 0xbfeca52d
	v_add_f64_e32 v[88:89], v[40:41], v[28:29]
	s_mov_b32 s16, 0x2b2883cd
	s_mov_b32 s17, 0x3fdc86fa
	v_add_f64_e64 v[108:109], v[40:41], -v[28:29]
	v_add_f64_e32 v[104:105], v[42:43], v[30:31]
	v_add_f64_e64 v[122:123], v[46:47], -v[62:63]
	s_mov_b32 s22, 0xeb564b22
	s_mov_b32 s23, 0xbfefdd0d
	v_add_f64_e32 v[100:101], v[44:45], v[60:61]
	s_mov_b32 s20, 0x3259b75e
	s_mov_b32 s21, 0x3fb79ee6
	v_add_f64_e64 v[120:121], v[44:45], -v[60:61]
	v_add_f64_e32 v[112:113], v[46:47], v[62:63]
	v_add_f64_e64 v[147:148], v[50:51], -v[82:83]
	s_mov_b32 s36, 0x923c349f
	s_mov_b32 s37, 0x3feec746
	;; [unrolled: 1-line block ×4, first 2 shown]
	v_add_f64_e32 v[116:117], v[48:49], v[80:81]
	s_wait_alu 0xfffe
	v_mul_f64_e32 v[163:164], s[0:1], v[167:168]
	s_mov_b32 s24, 0xc61f0d01
	s_mov_b32 s25, 0xbfd183b1
	v_add_f64_e64 v[137:138], v[48:49], -v[80:81]
	v_mul_f64_e32 v[2:3], s[10:11], v[98:99]
	v_add_f64_e32 v[129:130], v[50:51], v[82:83]
	v_add_f64_e64 v[165:166], v[54:55], -v[78:79]
	s_mov_b32 s42, 0x6c9a05f6
	s_mov_b32 s43, 0xbfe9895b
	v_add_f64_e32 v[124:125], v[52:53], v[76:77]
	v_mul_f64_e32 v[177:178], s[0:1], v[179:180]
	v_mul_f64_e32 v[4:5], s[10:11], v[96:97]
	s_mov_b32 s28, 0x6ed5f1bb
	s_mov_b32 s29, 0xbfe348c8
	v_add_f64_e64 v[153:154], v[52:53], -v[76:77]
	v_add_f64_e32 v[139:140], v[54:55], v[78:79]
	v_add_f64_e64 v[171:172], v[58:59], -v[74:75]
	s_mov_b32 s40, 0x4363dd80
	s_mov_b32 s41, 0x3fe0d888
	;; [unrolled: 1-line block ×4, first 2 shown]
	v_add_f64_e32 v[133:134], v[56:57], v[72:73]
	v_add_f64_e64 v[159:160], v[56:57], -v[72:73]
	s_mov_b32 s30, 0x910ea3b9
	s_mov_b32 s31, 0xbfeb34fa
	v_add_f64_e32 v[149:150], v[58:59], v[74:75]
	v_add_f64_e64 v[173:174], v[66:67], -v[70:71]
	s_mov_b32 s44, 0xacd6c6b4
	s_mov_b32 s45, 0xbfc7851a
	v_add_f64_e32 v[143:144], v[64:65], v[68:69]
	v_add_f64_e64 v[169:170], v[64:65], -v[68:69]
	s_mov_b32 s34, 0x7faef3
	s_mov_b32 s35, 0xbfef7484
	v_add_f64_e32 v[155:156], v[66:67], v[70:71]
	v_mul_f64_e32 v[114:115], s[10:11], v[167:168]
	v_mul_f64_e32 v[181:182], s[22:23], v[98:99]
	;; [unrolled: 1-line block ×4, first 2 shown]
	v_fma_f64 v[0:1], v[161:162], s[8:9], v[163:164]
	v_mul_f64_e32 v[183:184], s[42:43], v[110:111]
	v_mul_f64_e32 v[191:192], s[42:43], v[108:109]
	v_mul_f64_e32 v[185:186], s[44:45], v[122:123]
	scratch_store_b64 off, v[2:3], off offset:8 ; 8-byte Folded Spill
	v_fma_f64 v[2:3], v[84:85], s[14:15], v[2:3]
	v_mul_f64_e32 v[201:202], s[44:45], v[120:121]
	v_mul_f64_e32 v[197:198], s[40:41], v[147:148]
	;; [unrolled: 1-line block ×4, first 2 shown]
	s_mov_b32 s47, 0x3feca52d
	scratch_store_b64 off, v[4:5], off offset:100 ; 8-byte Folded Spill
	v_fma_f64 v[4:5], v[92:93], s[14:15], -v[4:5]
	s_mov_b32 s46, s18
	v_mul_f64_e32 v[233:234], s[36:37], v[153:154]
	s_mov_b32 s49, 0x3fd71e95
	v_mul_f64_e32 v[193:194], s[46:47], v[171:172]
	;; [unrolled: 2-line block ×3, first 2 shown]
	v_mul_f64_e32 v[189:190], s[42:43], v[98:99]
	v_mul_f64_e32 v[131:132], s[18:19], v[179:180]
	;; [unrolled: 1-line block ×5, first 2 shown]
	s_mov_b32 s51, 0x3fc7851a
	s_mov_b32 s50, s44
	v_mul_f64_e32 v[195:196], s[48:49], v[173:174]
	v_mul_f64_e32 v[199:200], s[50:51], v[110:111]
	;; [unrolled: 1-line block ×7, first 2 shown]
	s_mov_b32 s53, 0x3fe58eea
	s_mov_b32 s52, s10
	v_fma_f64 v[6:7], v[84:85], s[20:21], v[181:182]
	v_mul_f64_e32 v[231:232], s[52:53], v[147:148]
	v_fma_f64 v[8:9], v[92:93], s[20:21], -v[187:188]
	v_add_f64_e32 v[0:1], v[16:17], v[0:1]
	v_mul_f64_e32 v[249:250], s[52:53], v[137:138]
	v_mul_f64_e32 v[245:246], s[0:1], v[165:166]
	;; [unrolled: 1-line block ×17, first 2 shown]
	s_mov_b32 s55, 0x3fe9895b
	v_fma_f64 v[10:11], v[84:85], s[28:29], v[189:190]
	s_mov_b32 s54, s42
	v_fma_f64 v[12:13], v[92:93], s[28:29], -v[207:208]
	v_mul_f64_e32 v[247:248], s[54:55], v[171:172]
	v_add_f64_e32 v[0:1], v[2:3], v[0:1]
	v_fma_f64 v[2:3], v[175:176], s[8:9], -v[177:178]
	v_fma_f64 v[14:15], v[84:85], s[34:35], v[209:210]
	v_fma_f64 v[86:87], v[92:93], s[34:35], -v[227:228]
	s_delay_alu instid0(VALU_DEP_3) | instskip(NEXT) | instid1(VALU_DEP_1)
	v_add_f64_e32 v[2:3], v[18:19], v[2:3]
	v_add_f64_e32 v[2:3], v[4:5], v[2:3]
	v_mul_f64_e32 v[4:5], s[18:19], v[110:111]
	scratch_store_b64 off, v[4:5], off offset:84 ; 8-byte Folded Spill
	v_fma_f64 v[4:5], v[88:89], s[16:17], v[4:5]
	s_delay_alu instid0(VALU_DEP_1) | instskip(SKIP_3) | instid1(VALU_DEP_1)
	v_add_f64_e32 v[0:1], v[4:5], v[0:1]
	v_mul_f64_e32 v[4:5], s[18:19], v[108:109]
	scratch_store_b64 off, v[4:5], off offset:132 ; 8-byte Folded Spill
	v_fma_f64 v[4:5], v[104:105], s[16:17], -v[4:5]
	v_add_f64_e32 v[2:3], v[4:5], v[2:3]
	v_mul_f64_e32 v[4:5], s[22:23], v[122:123]
	scratch_store_b64 off, v[4:5], off offset:116 ; 8-byte Folded Spill
	v_fma_f64 v[4:5], v[100:101], s[20:21], v[4:5]
	s_delay_alu instid0(VALU_DEP_1) | instskip(SKIP_3) | instid1(VALU_DEP_1)
	v_add_f64_e32 v[0:1], v[4:5], v[0:1]
	v_mul_f64_e32 v[4:5], s[22:23], v[120:121]
	scratch_store_b64 off, v[4:5], off offset:148 ; 8-byte Folded Spill
	v_fma_f64 v[4:5], v[112:113], s[20:21], -v[4:5]
	;; [unrolled: 9-line block ×4, first 2 shown]
	v_add_f64_e32 v[2:3], v[4:5], v[2:3]
	v_mul_f64_e32 v[4:5], s[38:39], v[171:172]
	scratch_store_b64 off, v[4:5], off offset:212 ; 8-byte Folded Spill
	v_fma_f64 v[4:5], v[133:134], s[30:31], v[4:5]
	s_delay_alu instid0(VALU_DEP_1) | instskip(SKIP_1) | instid1(VALU_DEP_1)
	v_add_f64_e32 v[0:1], v[4:5], v[0:1]
	v_fma_f64 v[4:5], v[149:150], s[30:31], -v[151:152]
	v_add_f64_e32 v[2:3], v[4:5], v[2:3]
	v_mul_f64_e32 v[4:5], s[44:45], v[173:174]
	scratch_store_b64 off, v[4:5], off offset:232 ; 8-byte Folded Spill
	v_fma_f64 v[4:5], v[143:144], s[34:35], v[4:5]
	s_delay_alu instid0(VALU_DEP_1) | instskip(SKIP_1) | instid1(VALU_DEP_1)
	v_add_f64_e32 v[0:1], v[4:5], v[0:1]
	v_fma_f64 v[4:5], v[155:156], s[34:35], -v[157:158]
	v_add_f64_e32 v[2:3], v[4:5], v[2:3]
	v_fma_f64 v[4:5], v[161:162], s[14:15], v[114:115]
	scratch_store_b128 off, v[0:3], off offset:20 ; 16-byte Folded Spill
	v_add_f64_e32 v[4:5], v[16:17], v[4:5]
	s_delay_alu instid0(VALU_DEP_1) | instskip(SKIP_1) | instid1(VALU_DEP_1)
	v_add_f64_e32 v[4:5], v[6:7], v[4:5]
	v_fma_f64 v[6:7], v[175:176], s[14:15], -v[118:119]
	v_add_f64_e32 v[6:7], v[18:19], v[6:7]
	s_delay_alu instid0(VALU_DEP_1) | instskip(SKIP_1) | instid1(VALU_DEP_1)
	v_add_f64_e32 v[6:7], v[8:9], v[6:7]
	v_fma_f64 v[8:9], v[88:89], s[28:29], v[183:184]
	v_add_f64_e32 v[4:5], v[8:9], v[4:5]
	v_fma_f64 v[8:9], v[104:105], s[28:29], -v[191:192]
	s_delay_alu instid0(VALU_DEP_1) | instskip(SKIP_1) | instid1(VALU_DEP_1)
	v_add_f64_e32 v[6:7], v[8:9], v[6:7]
	v_fma_f64 v[8:9], v[100:101], s[34:35], v[185:186]
	v_add_f64_e32 v[4:5], v[8:9], v[4:5]
	v_fma_f64 v[8:9], v[112:113], s[34:35], -v[201:202]
	;; [unrolled: 5-line block ×6, first 2 shown]
	s_delay_alu instid0(VALU_DEP_1) | instskip(SKIP_3) | instid1(VALU_DEP_1)
	v_add_f64_e32 v[2:3], v[8:9], v[6:7]
	v_fma_f64 v[8:9], v[161:162], s[16:17], v[126:127]
	scratch_store_b128 off, v[0:3], off offset:36 ; 16-byte Folded Spill
	v_add_f64_e32 v[8:9], v[16:17], v[8:9]
	v_add_f64_e32 v[8:9], v[10:11], v[8:9]
	v_fma_f64 v[10:11], v[175:176], s[16:17], -v[131:132]
	s_delay_alu instid0(VALU_DEP_1) | instskip(NEXT) | instid1(VALU_DEP_1)
	v_add_f64_e32 v[10:11], v[18:19], v[10:11]
	v_add_f64_e32 v[10:11], v[12:13], v[10:11]
	v_fma_f64 v[12:13], v[88:89], s[34:35], v[199:200]
	s_delay_alu instid0(VALU_DEP_1) | instskip(SKIP_1) | instid1(VALU_DEP_1)
	v_add_f64_e32 v[8:9], v[12:13], v[8:9]
	v_fma_f64 v[12:13], v[104:105], s[34:35], -v[219:220]
	v_add_f64_e32 v[10:11], v[12:13], v[10:11]
	v_fma_f64 v[12:13], v[100:101], s[24:25], v[203:204]
	s_delay_alu instid0(VALU_DEP_1) | instskip(SKIP_1) | instid1(VALU_DEP_1)
	v_add_f64_e32 v[8:9], v[12:13], v[8:9]
	v_fma_f64 v[12:13], v[112:113], s[24:25], -v[235:236]
	;; [unrolled: 5-line block ×6, first 2 shown]
	v_add_f64_e32 v[2:3], v[12:13], v[10:11]
	v_fma_f64 v[12:13], v[161:162], s[20:21], v[135:136]
	scratch_store_b128 off, v[0:3], off offset:52 ; 16-byte Folded Spill
	v_add_f64_e32 v[12:13], v[16:17], v[12:13]
	s_delay_alu instid0(VALU_DEP_1) | instskip(SKIP_1) | instid1(VALU_DEP_1)
	v_add_f64_e32 v[12:13], v[14:15], v[12:13]
	v_fma_f64 v[14:15], v[175:176], s[20:21], -v[141:142]
	v_add_f64_e32 v[14:15], v[18:19], v[14:15]
	s_delay_alu instid0(VALU_DEP_1) | instskip(SKIP_1) | instid1(VALU_DEP_1)
	v_add_f64_e32 v[14:15], v[86:87], v[14:15]
	v_fma_f64 v[86:87], v[88:89], s[24:25], v[221:222]
	v_add_f64_e32 v[12:13], v[86:87], v[12:13]
	v_fma_f64 v[86:87], v[104:105], s[24:25], -v[241:242]
	s_delay_alu instid0(VALU_DEP_1) | instskip(SKIP_1) | instid1(VALU_DEP_1)
	v_add_f64_e32 v[14:15], v[86:87], v[14:15]
	v_fma_f64 v[86:87], v[100:101], s[8:9], v[225:226]
	v_add_f64_e32 v[12:13], v[86:87], v[12:13]
	v_fma_f64 v[86:87], v[112:113], s[8:9], -v[251:252]
	;; [unrolled: 5-line block ×3, first 2 shown]
	s_delay_alu instid0(VALU_DEP_1) | instskip(SKIP_1) | instid1(VALU_DEP_1)
	v_add_f64_e32 v[14:15], v[86:87], v[14:15]
	v_mul_f64_e32 v[86:87], s[38:39], v[165:166]
	v_fma_f64 v[102:103], v[124:125], s[30:31], v[86:87]
	s_delay_alu instid0(VALU_DEP_1) | instskip(SKIP_1) | instid1(VALU_DEP_1)
	v_add_f64_e32 v[12:13], v[102:103], v[12:13]
	v_mul_f64_e32 v[102:103], s[38:39], v[153:154]
	v_fma_f64 v[106:107], v[139:140], s[30:31], -v[102:103]
	s_delay_alu instid0(VALU_DEP_1) | instskip(SKIP_1) | instid1(VALU_DEP_1)
	v_add_f64_e32 v[14:15], v[106:107], v[14:15]
	v_fma_f64 v[106:107], v[133:134], s[28:29], v[247:248]
	v_add_f64_e32 v[12:13], v[106:107], v[12:13]
	v_mul_f64_e32 v[106:107], s[54:55], v[159:160]
	s_delay_alu instid0(VALU_DEP_1) | instskip(NEXT) | instid1(VALU_DEP_1)
	v_fma_f64 v[243:244], v[149:150], s[28:29], -v[106:107]
	v_add_f64_e32 v[14:15], v[243:244], v[14:15]
	v_mul_f64_e32 v[243:244], s[52:53], v[173:174]
	s_delay_alu instid0(VALU_DEP_1) | instskip(NEXT) | instid1(VALU_DEP_1)
	v_fma_f64 v[253:254], v[143:144], s[14:15], v[243:244]
	v_add_f64_e32 v[0:1], v[253:254], v[12:13]
	v_mul_f64_e32 v[253:254], s[52:53], v[169:170]
	s_delay_alu instid0(VALU_DEP_1) | instskip(NEXT) | instid1(VALU_DEP_1)
	v_fma_f64 v[145:146], v[155:156], s[14:15], -v[253:254]
	v_add_f64_e32 v[2:3], v[145:146], v[14:15]
	scratch_store_b128 off, v[0:3], off offset:68 ; 16-byte Folded Spill
	global_wb scope:SCOPE_SE
	s_wait_storecnt 0x0
	s_barrier_signal -1
	s_barrier_wait -1
	global_inv scope:SCOPE_SE
	s_and_saveexec_b32 s33, vcc_lo
	s_cbranch_execz .LBB0_7
; %bb.6:
	v_add_f64_e32 v[32:33], v[16:17], v[32:33]
	v_add_f64_e32 v[34:35], v[18:19], v[34:35]
	s_mov_b32 s57, 0x3fefdd0d
	s_mov_b32 s56, s22
	scratch_load_b64 v[0:1], off, off offset:224 th:TH_LOAD_LU ; 8-byte Folded Reload
	v_mul_f64_e32 v[145:146], s[56:57], v[173:174]
	v_add_f64_e32 v[32:33], v[32:33], v[36:37]
	v_add_f64_e32 v[34:35], v[34:35], v[38:39]
	v_mul_f64_e32 v[36:37], s[24:25], v[175:176]
	s_delay_alu instid0(VALU_DEP_3) | instskip(NEXT) | instid1(VALU_DEP_3)
	v_add_f64_e32 v[32:33], v[32:33], v[40:41]
	v_add_f64_e32 v[34:35], v[34:35], v[42:43]
	v_mul_f64_e32 v[42:43], s[20:21], v[161:162]
	s_delay_alu instid0(VALU_DEP_4)
	v_fma_f64 v[38:39], v[179:180], s[36:37], v[36:37]
	v_fma_f64 v[36:37], v[179:180], s[26:27], v[36:37]
	v_mul_f64_e32 v[40:41], s[20:21], v[175:176]
	v_add_f64_e32 v[32:33], v[32:33], v[44:45]
	v_add_f64_e32 v[34:35], v[34:35], v[46:47]
	v_mul_f64_e32 v[44:45], s[16:17], v[175:176]
	v_mul_f64_e32 v[46:47], s[16:17], v[161:162]
	v_add_f64_e64 v[42:43], v[42:43], -v[135:136]
	v_add_f64_e32 v[40:41], v[141:142], v[40:41]
	v_mul_f64_e32 v[141:142], s[20:21], v[155:156]
	v_add_f64_e32 v[32:33], v[32:33], v[48:49]
	v_add_f64_e32 v[34:35], v[34:35], v[50:51]
	v_mul_f64_e32 v[50:51], s[14:15], v[161:162]
	v_add_f64_e32 v[44:45], v[131:132], v[44:45]
	v_add_f64_e64 v[46:47], v[46:47], -v[126:127]
	v_mul_f64_e32 v[48:49], s[14:15], v[175:176]
	v_add_f64_e32 v[42:43], v[16:17], v[42:43]
	v_add_f64_e32 v[40:41], v[18:19], v[40:41]
	;; [unrolled: 1-line block ×4, first 2 shown]
	v_mul_f64_e32 v[54:55], s[44:45], v[167:168]
	v_add_f64_e64 v[50:51], v[50:51], -v[114:115]
	v_mul_f64_e32 v[52:53], s[8:9], v[175:176]
	v_add_f64_e32 v[48:49], v[118:119], v[48:49]
	v_add_f64_e32 v[32:33], v[32:33], v[56:57]
	;; [unrolled: 1-line block ×3, first 2 shown]
	v_mul_f64_e32 v[56:57], s[38:39], v[167:168]
	v_mul_f64_e32 v[58:59], s[42:43], v[167:168]
	v_add_f64_e32 v[52:53], v[177:178], v[52:53]
	v_mul_f64_e32 v[177:178], s[24:25], v[124:125]
	v_add_f64_e32 v[32:33], v[32:33], v[64:65]
	v_add_f64_e32 v[34:35], v[34:35], v[66:67]
	v_fma_f64 v[64:65], v[161:162], s[30:31], v[56:57]
	v_fma_f64 v[56:57], v[161:162], s[30:31], -v[56:57]
	v_fma_f64 v[66:67], v[161:162], s[28:29], v[58:59]
	v_fma_f64 v[58:59], v[161:162], s[28:29], -v[58:59]
	v_add_f64_e64 v[177:178], v[177:178], -v[211:212]
	v_add_f64_e32 v[32:33], v[32:33], v[68:69]
	v_add_f64_e32 v[34:35], v[34:35], v[70:71]
	v_mul_f64_e32 v[70:71], s[8:9], v[161:162]
	v_add_f64_e32 v[64:65], v[16:17], v[64:65]
	v_add_f64_e32 v[56:57], v[16:17], v[56:57]
	v_add_f64_e32 v[66:67], v[16:17], v[66:67]
	v_add_f64_e32 v[58:59], v[16:17], v[58:59]
	v_add_f64_e32 v[32:33], v[32:33], v[72:73]
	v_add_f64_e32 v[34:35], v[34:35], v[74:75]
	v_add_f64_e64 v[70:71], v[70:71], -v[163:164]
	v_mul_f64_e32 v[163:164], s[24:25], v[155:156]
	s_delay_alu instid0(VALU_DEP_4) | instskip(NEXT) | instid1(VALU_DEP_4)
	v_add_f64_e32 v[32:33], v[32:33], v[76:77]
	v_add_f64_e32 v[34:35], v[34:35], v[78:79]
	;; [unrolled: 1-line block ×9, first 2 shown]
	v_mul_f64_e32 v[44:45], s[30:31], v[104:105]
	v_add_f64_e32 v[82:83], v[18:19], v[52:53]
	v_add_f64_e32 v[32:33], v[32:33], v[60:61]
	;; [unrolled: 1-line block ×3, first 2 shown]
	v_mul_f64_e32 v[60:61], s[26:27], v[167:168]
	v_fma_f64 v[62:63], v[161:162], s[34:35], v[54:55]
	v_fma_f64 v[54:55], v[161:162], s[34:35], -v[54:55]
	v_fma_f64 v[46:47], v[108:109], s[40:41], v[44:45]
	v_mul_f64_e32 v[167:168], s[26:27], v[173:174]
	v_add_f64_e32 v[28:29], v[32:33], v[28:29]
	v_add_f64_e32 v[30:31], v[34:35], v[30:31]
	v_mul_f64_e32 v[32:33], s[28:29], v[175:176]
	v_fma_f64 v[68:69], v[161:162], s[24:25], v[60:61]
	v_fma_f64 v[60:61], v[161:162], s[24:25], -v[60:61]
	v_add_f64_e32 v[62:63], v[16:17], v[62:63]
	v_add_f64_e32 v[54:55], v[16:17], v[54:55]
	v_mul_f64_e32 v[161:162], s[52:53], v[171:172]
	v_add_f64_e32 v[24:25], v[28:29], v[24:25]
	v_mul_f64_e32 v[28:29], s[30:31], v[175:176]
	v_add_f64_e32 v[26:27], v[30:31], v[26:27]
	v_fma_f64 v[34:35], v[179:180], s[54:55], v[32:33]
	v_add_f64_e32 v[68:69], v[16:17], v[68:69]
	v_add_f64_e32 v[60:61], v[16:17], v[60:61]
	v_fma_f64 v[32:33], v[179:180], s[42:43], v[32:33]
	v_add_f64_e32 v[20:21], v[24:25], v[20:21]
	v_mul_f64_e32 v[24:25], s[34:35], v[175:176]
	v_fma_f64 v[30:31], v[179:180], s[40:41], v[28:29]
	v_fma_f64 v[28:29], v[179:180], s[38:39], v[28:29]
	v_add_f64_e32 v[22:23], v[26:27], v[22:23]
	v_add_f64_e32 v[74:75], v[18:19], v[34:35]
	;; [unrolled: 1-line block ×5, first 2 shown]
	v_mul_f64_e32 v[175:176], s[20:21], v[92:93]
	v_fma_f64 v[26:27], v[179:180], s[50:51], v[24:25]
	v_fma_f64 v[24:25], v[179:180], s[44:45], v[24:25]
	v_add_f64_e32 v[72:73], v[18:19], v[28:29]
	v_mul_f64_e32 v[28:29], s[8:9], v[92:93]
	v_add_f64_e32 v[30:31], v[18:19], v[30:31]
	v_mul_f64_e32 v[179:180], s[30:31], v[116:117]
	;; [unrolled: 2-line block ×3, first 2 shown]
	v_add_f64_e32 v[26:27], v[18:19], v[26:27]
	v_add_f64_e32 v[24:25], v[18:19], v[24:25]
	v_fma_f64 v[16:17], v[96:97], s[0:1], v[28:29]
	v_fma_f64 v[28:29], v[96:97], s[48:49], v[28:29]
	v_add_f64_e64 v[179:180], v[179:180], -v[197:198]
	v_add_f64_e32 v[32:33], v[175:176], v[32:33]
	v_add_f64_e64 v[181:182], v[187:188], -v[181:182]
	v_mul_f64_e32 v[187:188], s[28:29], v[88:89]
	v_mul_f64_e32 v[175:176], s[34:35], v[100:101]
	v_add_f64_e32 v[16:17], v[16:17], v[26:27]
	v_mul_f64_e32 v[26:27], s[48:49], v[98:99]
	v_add_f64_e32 v[24:25], v[28:29], v[24:25]
	v_fma_f64 v[28:29], v[108:109], s[38:39], v[44:45]
	v_fma_f64 v[44:45], v[143:144], s[20:21], -v[145:146]
	v_add_f64_e32 v[34:35], v[181:182], v[34:35]
	v_add_f64_e64 v[183:184], v[187:188], -v[183:184]
	v_add_f64_e64 v[175:176], v[175:176], -v[185:186]
	v_mul_f64_e32 v[181:182], s[34:35], v[88:89]
	v_mul_f64_e32 v[185:186], s[28:29], v[155:156]
	;; [unrolled: 1-line block ×4, first 2 shown]
	v_add_f64_e32 v[16:17], v[46:47], v[16:17]
	v_fma_f64 v[18:19], v[84:85], s[8:9], v[26:27]
	v_mul_f64_e32 v[46:47], s[38:39], v[110:111]
	v_fma_f64 v[26:27], v[84:85], s[8:9], -v[26:27]
	v_add_f64_e32 v[24:25], v[28:29], v[24:25]
	v_add_f64_e32 v[34:35], v[183:184], v[34:35]
	v_mul_f64_e32 v[183:184], s[0:1], v[171:172]
	v_add_f64_e64 v[181:182], v[181:182], -v[199:200]
	v_mul_f64_e32 v[199:200], s[16:17], v[155:156]
	v_add_f64_e32 v[18:19], v[18:19], v[62:63]
	v_fma_f64 v[48:49], v[88:89], s[30:31], v[46:47]
	v_add_f64_e32 v[26:27], v[26:27], v[54:55]
	v_fma_f64 v[28:29], v[88:89], s[30:31], -v[46:47]
	v_mul_f64_e32 v[54:55], s[46:47], v[98:99]
	v_mul_f64_e32 v[46:47], s[30:31], v[129:130]
	v_add_f64_e32 v[34:35], v[175:176], v[34:35]
	v_mul_f64_e32 v[175:176], s[8:9], v[124:125]
	v_add_f64_e32 v[18:19], v[48:49], v[18:19]
	;; [unrolled: 2-line block ×3, first 2 shown]
	v_add_f64_e32 v[46:47], v[215:216], v[46:47]
	v_add_f64_e32 v[34:35], v[179:180], v[34:35]
	v_mul_f64_e32 v[179:180], s[28:29], v[84:85]
	v_add_f64_e64 v[175:176], v[175:176], -v[245:246]
	v_fma_f64 v[50:51], v[120:121], s[10:11], v[48:49]
	v_fma_f64 v[28:29], v[120:121], s[52:53], v[48:49]
	v_mul_f64_e32 v[48:49], s[34:35], v[112:113]
	v_add_f64_e32 v[34:35], v[177:178], v[34:35]
	v_add_f64_e64 v[179:180], v[179:180], -v[189:190]
	v_mul_f64_e32 v[177:178], s[14:15], v[116:117]
	v_mul_f64_e32 v[189:190], s[24:25], v[92:93]
	v_add_f64_e32 v[16:17], v[50:51], v[16:17]
	v_mul_f64_e32 v[50:51], s[52:53], v[122:123]
	v_add_f64_e32 v[24:25], v[28:29], v[24:25]
	v_add_f64_e32 v[48:49], v[201:202], v[48:49]
	;; [unrolled: 1-line block ×3, first 2 shown]
	v_add_f64_e64 v[177:178], v[177:178], -v[231:232]
	v_mul_f64_e32 v[179:180], s[56:57], v[165:166]
	v_fma_f64 v[52:53], v[100:101], s[14:15], v[50:51]
	v_fma_f64 v[28:29], v[100:101], s[14:15], -v[50:51]
	v_mul_f64_e32 v[50:51], s[28:29], v[104:105]
	v_add_f64_e32 v[38:39], v[181:182], v[38:39]
	v_mul_f64_e32 v[181:182], s[8:9], v[149:150]
	v_add_f64_e32 v[18:19], v[52:53], v[18:19]
	v_mul_f64_e32 v[52:53], s[28:29], v[129:130]
	v_add_f64_e32 v[26:27], v[28:29], v[26:27]
	v_add_f64_e32 v[50:51], v[191:192], v[50:51]
	s_delay_alu instid0(VALU_DEP_3) | instskip(SKIP_2) | instid1(VALU_DEP_4)
	v_fma_f64 v[62:63], v[137:138], s[54:55], v[52:53]
	v_fma_f64 v[28:29], v[137:138], s[42:43], v[52:53]
	v_mul_f64_e32 v[52:53], s[16:17], v[92:93]
	v_add_f64_e32 v[32:33], v[50:51], v[32:33]
	v_mul_f64_e32 v[50:51], s[16:17], v[149:150]
	v_add_f64_e32 v[16:17], v[62:63], v[16:17]
	;; [unrolled: 2-line block ×3, first 2 shown]
	v_add_f64_e32 v[32:33], v[48:49], v[32:33]
	v_mul_f64_e32 v[48:49], s[16:17], v[133:134]
	v_add_f64_e32 v[50:51], v[205:206], v[50:51]
	v_fma_f64 v[114:115], v[116:117], s[28:29], v[62:63]
	v_fma_f64 v[28:29], v[116:117], s[28:29], -v[62:63]
	v_mul_f64_e32 v[62:63], s[20:21], v[104:105]
	v_add_f64_e32 v[32:33], v[46:47], v[32:33]
	v_add_f64_e64 v[48:49], v[48:49], -v[193:194]
	v_mul_f64_e32 v[46:47], s[8:9], v[155:156]
	v_add_f64_e32 v[18:19], v[114:115], v[18:19]
	v_mul_f64_e32 v[114:115], s[16:17], v[139:140]
	v_add_f64_e32 v[26:27], v[28:29], v[26:27]
	v_add_f64_e32 v[48:49], v[48:49], v[34:35]
	;; [unrolled: 1-line block ×3, first 2 shown]
	s_delay_alu instid0(VALU_DEP_4) | instskip(SKIP_2) | instid1(VALU_DEP_3)
	v_fma_f64 v[118:119], v[153:154], s[18:19], v[114:115]
	v_fma_f64 v[28:29], v[153:154], s[46:47], v[114:115]
	v_mul_f64_e32 v[114:115], s[28:29], v[112:113]
	v_add_f64_e32 v[16:17], v[118:119], v[16:17]
	v_mul_f64_e32 v[118:119], s[46:47], v[165:166]
	s_delay_alu instid0(VALU_DEP_4) | instskip(NEXT) | instid1(VALU_DEP_2)
	v_add_f64_e32 v[24:25], v[28:29], v[24:25]
	v_fma_f64 v[126:127], v[124:125], s[16:17], v[118:119]
	v_fma_f64 v[28:29], v[124:125], s[16:17], -v[118:119]
	v_mul_f64_e32 v[118:119], s[54:55], v[122:123]
	s_delay_alu instid0(VALU_DEP_3) | instskip(SKIP_1) | instid1(VALU_DEP_4)
	v_add_f64_e32 v[18:19], v[126:127], v[18:19]
	v_mul_f64_e32 v[126:127], s[24:25], v[149:150]
	v_add_f64_e32 v[26:27], v[28:29], v[26:27]
	s_delay_alu instid0(VALU_DEP_2) | instskip(SKIP_2) | instid1(VALU_DEP_3)
	v_fma_f64 v[131:132], v[159:160], s[36:37], v[126:127]
	v_fma_f64 v[28:29], v[159:160], s[26:27], v[126:127]
	v_mul_f64_e32 v[126:127], s[8:9], v[129:130]
	v_add_f64_e32 v[16:17], v[131:132], v[16:17]
	v_mul_f64_e32 v[131:132], s[26:27], v[171:172]
	s_delay_alu instid0(VALU_DEP_4) | instskip(SKIP_1) | instid1(VALU_DEP_3)
	v_add_f64_e32 v[24:25], v[28:29], v[24:25]
	v_mul_f64_e32 v[171:172], s[44:45], v[171:172]
	v_fma_f64 v[28:29], v[133:134], s[24:25], -v[131:132]
	v_fma_f64 v[135:136], v[133:134], s[24:25], v[131:132]
	v_mul_f64_e32 v[131:132], s[0:1], v[147:148]
	s_delay_alu instid0(VALU_DEP_3) | instskip(SKIP_1) | instid1(VALU_DEP_4)
	v_add_f64_e32 v[28:29], v[28:29], v[26:27]
	v_fma_f64 v[26:27], v[169:170], s[56:57], v[141:142]
	v_add_f64_e32 v[135:136], v[135:136], v[18:19]
	v_fma_f64 v[18:19], v[169:170], s[22:23], v[141:142]
	v_mul_f64_e32 v[141:142], s[44:45], v[165:166]
	v_mul_f64_e32 v[165:166], s[10:11], v[165:166]
	v_add_f64_e32 v[26:27], v[26:27], v[24:25]
	v_add_f64_e32 v[24:25], v[44:45], v[28:29]
	v_fma_f64 v[28:29], v[96:97], s[18:19], v[52:53]
	v_fma_f64 v[44:45], v[108:109], s[56:57], v[62:63]
	v_add_f64_e32 v[18:19], v[18:19], v[16:17]
	v_fma_f64 v[16:17], v[143:144], s[20:21], v[145:146]
	v_mul_f64_e32 v[145:146], s[14:15], v[149:150]
	v_fma_f64 v[52:53], v[96:97], s[46:47], v[52:53]
	v_add_f64_e32 v[28:29], v[28:29], v[30:31]
	v_fma_f64 v[30:31], v[84:85], s[16:17], v[54:55]
	v_fma_f64 v[54:55], v[84:85], s[16:17], -v[54:55]
	v_add_f64_e32 v[16:17], v[16:17], v[135:136]
	v_mul_f64_e32 v[135:136], s[34:35], v[139:140]
	v_add_f64_e32 v[52:53], v[52:53], v[72:73]
	v_add_f64_e32 v[28:29], v[44:45], v[28:29]
	;; [unrolled: 1-line block ×3, first 2 shown]
	v_mul_f64_e32 v[64:65], s[22:23], v[110:111]
	v_add_f64_e32 v[54:55], v[54:55], v[56:57]
	v_fma_f64 v[56:57], v[108:109], s[22:23], v[62:63]
	v_fma_f64 v[62:63], v[143:144], s[24:25], -v[167:168]
	s_delay_alu instid0(VALU_DEP_4) | instskip(NEXT) | instid1(VALU_DEP_3)
	v_fma_f64 v[44:45], v[88:89], s[20:21], v[64:65]
	v_add_f64_e32 v[52:53], v[56:57], v[52:53]
	v_fma_f64 v[56:57], v[88:89], s[20:21], -v[64:65]
	v_fma_f64 v[64:65], v[143:144], s[16:17], v[173:174]
	s_delay_alu instid0(VALU_DEP_4) | instskip(SKIP_1) | instid1(VALU_DEP_4)
	v_add_f64_e32 v[30:31], v[44:45], v[30:31]
	v_fma_f64 v[44:45], v[120:121], s[42:43], v[114:115]
	v_add_f64_e32 v[54:55], v[56:57], v[54:55]
	v_fma_f64 v[56:57], v[120:121], s[54:55], v[114:115]
	s_delay_alu instid0(VALU_DEP_3) | instskip(SKIP_1) | instid1(VALU_DEP_3)
	v_add_f64_e32 v[28:29], v[44:45], v[28:29]
	v_fma_f64 v[44:45], v[100:101], s[28:29], v[118:119]
	v_add_f64_e32 v[52:53], v[56:57], v[52:53]
	v_fma_f64 v[56:57], v[100:101], s[28:29], -v[118:119]
	s_delay_alu instid0(VALU_DEP_3) | instskip(SKIP_1) | instid1(VALU_DEP_3)
	v_add_f64_e32 v[30:31], v[44:45], v[30:31]
	v_fma_f64 v[44:45], v[137:138], s[48:49], v[126:127]
	v_add_f64_e32 v[54:55], v[56:57], v[54:55]
	v_fma_f64 v[56:57], v[137:138], s[0:1], v[126:127]
	s_delay_alu instid0(VALU_DEP_3) | instskip(SKIP_1) | instid1(VALU_DEP_3)
	v_add_f64_e32 v[28:29], v[44:45], v[28:29]
	v_fma_f64 v[44:45], v[116:117], s[8:9], v[131:132]
	v_add_f64_e32 v[52:53], v[56:57], v[52:53]
	v_fma_f64 v[56:57], v[116:117], s[8:9], -v[131:132]
	s_delay_alu instid0(VALU_DEP_3) | instskip(SKIP_1) | instid1(VALU_DEP_3)
	;; [unrolled: 10-line block ×4, first 2 shown]
	v_add_f64_e32 v[44:45], v[44:45], v[30:31]
	v_fma_f64 v[30:31], v[169:170], s[36:37], v[163:164]
	v_add_f64_e32 v[56:57], v[56:57], v[54:55]
	v_fma_f64 v[54:55], v[169:170], s[26:27], v[163:164]
	s_delay_alu instid0(VALU_DEP_3) | instskip(SKIP_1) | instid1(VALU_DEP_3)
	v_add_f64_e32 v[30:31], v[30:31], v[28:29]
	v_fma_f64 v[28:29], v[143:144], s[24:25], v[167:168]
	v_add_f64_e32 v[54:55], v[54:55], v[52:53]
	v_add_f64_e32 v[52:53], v[62:63], v[56:57]
	v_fma_f64 v[56:57], v[96:97], s[26:27], v[189:190]
	s_delay_alu instid0(VALU_DEP_4) | instskip(SKIP_1) | instid1(VALU_DEP_3)
	v_add_f64_e32 v[28:29], v[28:29], v[44:45]
	v_mul_f64_e32 v[44:45], s[24:25], v[139:140]
	v_add_f64_e32 v[56:57], v[56:57], v[74:75]
	s_delay_alu instid0(VALU_DEP_2) | instskip(NEXT) | instid1(VALU_DEP_1)
	v_add_f64_e32 v[44:45], v[233:234], v[44:45]
	v_add_f64_e32 v[32:33], v[44:45], v[32:33]
	v_mul_f64_e32 v[44:45], s[8:9], v[143:144]
	s_delay_alu instid0(VALU_DEP_2) | instskip(NEXT) | instid1(VALU_DEP_2)
	v_add_f64_e32 v[32:33], v[50:51], v[32:33]
	v_add_f64_e64 v[44:45], v[44:45], -v[195:196]
	v_mul_f64_e32 v[50:51], s[34:35], v[104:105]
	s_delay_alu instid0(VALU_DEP_3) | instskip(NEXT) | instid1(VALU_DEP_3)
	v_add_f64_e32 v[34:35], v[46:47], v[32:33]
	v_add_f64_e32 v[32:33], v[44:45], v[48:49]
	v_mul_f64_e32 v[44:45], s[8:9], v[139:140]
	v_mul_f64_e32 v[48:49], s[24:25], v[112:113]
	v_add_f64_e32 v[50:51], v[219:220], v[50:51]
	v_mul_f64_e32 v[46:47], s[14:15], v[129:130]
	s_delay_alu instid0(VALU_DEP_4) | instskip(SKIP_2) | instid1(VALU_DEP_4)
	v_add_f64_e32 v[44:45], v[90:91], v[44:45]
	v_mul_f64_e32 v[90:91], s[28:29], v[92:93]
	v_add_f64_e32 v[48:49], v[235:236], v[48:49]
	v_add_f64_e32 v[46:47], v[249:250], v[46:47]
	s_delay_alu instid0(VALU_DEP_3) | instskip(NEXT) | instid1(VALU_DEP_1)
	v_add_f64_e32 v[90:91], v[207:208], v[90:91]
	v_add_f64_e32 v[36:37], v[90:91], v[36:37]
	v_mul_f64_e32 v[90:91], s[24:25], v[100:101]
	s_delay_alu instid0(VALU_DEP_2) | instskip(NEXT) | instid1(VALU_DEP_2)
	v_add_f64_e32 v[36:37], v[50:51], v[36:37]
	v_add_f64_e64 v[90:91], v[90:91], -v[203:204]
	v_mul_f64_e32 v[50:51], s[20:21], v[149:150]
	s_delay_alu instid0(VALU_DEP_3) | instskip(NEXT) | instid1(VALU_DEP_3)
	v_add_f64_e32 v[36:37], v[48:49], v[36:37]
	v_add_f64_e32 v[38:39], v[90:91], v[38:39]
	s_delay_alu instid0(VALU_DEP_3)
	v_add_f64_e32 v[50:51], v[237:238], v[50:51]
	v_mul_f64_e32 v[48:49], s[20:21], v[133:134]
	v_mul_f64_e32 v[90:91], s[24:25], v[104:105]
	v_add_f64_e32 v[36:37], v[46:47], v[36:37]
	v_add_f64_e32 v[38:39], v[177:178], v[38:39]
	v_mul_f64_e32 v[46:47], s[30:31], v[155:156]
	v_add_f64_e64 v[48:49], v[48:49], -v[223:224]
	v_add_f64_e32 v[90:91], v[241:242], v[90:91]
	v_mul_f64_e32 v[177:178], s[20:21], v[139:140]
	v_add_f64_e32 v[36:37], v[44:45], v[36:37]
	v_add_f64_e32 v[38:39], v[175:176], v[38:39]
	;; [unrolled: 1-line block ×3, first 2 shown]
	v_mul_f64_e32 v[44:45], s[30:31], v[143:144]
	v_mul_f64_e32 v[175:176], s[44:45], v[147:148]
	;; [unrolled: 1-line block ×3, first 2 shown]
	v_add_f64_e32 v[36:37], v[50:51], v[36:37]
	v_add_f64_e32 v[48:49], v[48:49], v[38:39]
	v_mul_f64_e32 v[50:51], s[8:9], v[112:113]
	v_add_f64_e64 v[44:45], v[44:45], -v[217:218]
	s_delay_alu instid0(VALU_DEP_4) | instskip(SKIP_1) | instid1(VALU_DEP_4)
	v_add_f64_e32 v[38:39], v[46:47], v[36:37]
	v_mul_f64_e32 v[46:47], s[30:31], v[139:140]
	v_add_f64_e32 v[50:51], v[251:252], v[50:51]
	s_delay_alu instid0(VALU_DEP_4) | instskip(SKIP_4) | instid1(VALU_DEP_4)
	v_add_f64_e32 v[36:37], v[44:45], v[48:49]
	v_mul_f64_e32 v[48:49], s[16:17], v[129:130]
	v_mul_f64_e32 v[44:45], s[28:29], v[149:150]
	v_add_f64_e32 v[46:47], v[102:103], v[46:47]
	v_mul_f64_e32 v[102:103], s[30:31], v[124:125]
	v_add_f64_e32 v[48:49], v[94:95], v[48:49]
	;; [unrolled: 2-line block ×3, first 2 shown]
	v_mul_f64_e32 v[106:107], s[24:25], v[88:89]
	v_add_f64_e64 v[86:87], v[102:103], -v[86:87]
	v_mul_f64_e32 v[102:103], s[34:35], v[84:85]
	v_add_f64_e32 v[94:95], v[227:228], v[94:95]
	s_delay_alu instid0(VALU_DEP_4) | instskip(NEXT) | instid1(VALU_DEP_3)
	v_add_f64_e64 v[106:107], v[106:107], -v[221:222]
	v_add_f64_e64 v[102:103], v[102:103], -v[209:210]
	s_delay_alu instid0(VALU_DEP_3) | instskip(SKIP_1) | instid1(VALU_DEP_3)
	v_add_f64_e32 v[40:41], v[94:95], v[40:41]
	v_mul_f64_e32 v[94:95], s[8:9], v[100:101]
	v_add_f64_e32 v[42:43], v[102:103], v[42:43]
	v_mul_f64_e32 v[102:103], s[18:19], v[122:123]
	s_delay_alu instid0(VALU_DEP_4) | instskip(NEXT) | instid1(VALU_DEP_4)
	v_add_f64_e32 v[40:41], v[90:91], v[40:41]
	v_add_f64_e64 v[94:95], v[94:95], -v[225:226]
	v_mul_f64_e32 v[90:91], s[16:17], v[116:117]
	v_mul_f64_e32 v[122:123], s[38:39], v[122:123]
	v_add_f64_e32 v[42:43], v[106:107], v[42:43]
	v_mul_f64_e32 v[106:107], s[34:35], v[129:130]
	v_add_f64_e32 v[40:41], v[50:51], v[40:41]
	v_mul_f64_e32 v[50:51], s[28:29], v[133:134]
	v_add_f64_e64 v[90:91], v[90:91], -v[229:230]
	v_add_f64_e32 v[42:43], v[94:95], v[42:43]
	v_mul_f64_e32 v[94:95], s[16:17], v[112:113]
	v_add_f64_e32 v[40:41], v[48:49], v[40:41]
	v_add_f64_e64 v[50:51], v[50:51], -v[247:248]
	v_mul_f64_e32 v[48:49], s[14:15], v[155:156]
	v_fma_f64 v[72:73], v[137:138], s[50:51], v[106:107]
	v_add_f64_e32 v[42:43], v[90:91], v[42:43]
	v_mul_f64_e32 v[90:91], s[52:53], v[110:111]
	v_add_f64_e32 v[40:41], v[46:47], v[40:41]
	v_mul_f64_e32 v[46:47], s[14:15], v[143:144]
	v_add_f64_e32 v[48:49], v[253:254], v[48:49]
	v_fma_f64 v[74:75], v[120:121], s[46:47], v[94:95]
	v_add_f64_e32 v[42:43], v[86:87], v[42:43]
	v_mul_f64_e32 v[86:87], s[30:31], v[92:93]
	v_add_f64_e32 v[40:41], v[44:45], v[40:41]
	v_add_f64_e64 v[46:47], v[46:47], -v[243:244]
	s_delay_alu instid0(VALU_DEP_4) | instskip(NEXT) | instid1(VALU_DEP_3)
	v_add_f64_e32 v[44:45], v[50:51], v[42:43]
	v_add_f64_e32 v[42:43], v[48:49], v[40:41]
	s_delay_alu instid0(VALU_DEP_2) | instskip(SKIP_1) | instid1(VALU_DEP_1)
	v_add_f64_e32 v[40:41], v[46:47], v[44:45]
	v_fma_f64 v[44:45], v[96:97], s[40:41], v[86:87]
	v_add_f64_e32 v[44:45], v[44:45], v[80:81]
	v_mul_f64_e32 v[80:81], s[40:41], v[98:99]
	s_delay_alu instid0(VALU_DEP_1) | instskip(NEXT) | instid1(VALU_DEP_1)
	v_fma_f64 v[46:47], v[84:85], s[30:31], -v[80:81]
	v_add_f64_e32 v[46:47], v[46:47], v[60:61]
	v_mul_f64_e32 v[60:61], s[14:15], v[104:105]
	s_delay_alu instid0(VALU_DEP_1) | instskip(SKIP_1) | instid1(VALU_DEP_2)
	v_fma_f64 v[48:49], v[108:109], s[52:53], v[60:61]
	v_fma_f64 v[60:61], v[108:109], s[10:11], v[60:61]
	v_add_f64_e32 v[44:45], v[48:49], v[44:45]
	v_fma_f64 v[48:49], v[88:89], s[14:15], -v[90:91]
	s_delay_alu instid0(VALU_DEP_1) | instskip(SKIP_1) | instid1(VALU_DEP_1)
	v_add_f64_e32 v[46:47], v[48:49], v[46:47]
	v_fma_f64 v[48:49], v[120:121], s[18:19], v[94:95]
	v_add_f64_e32 v[44:45], v[48:49], v[44:45]
	v_fma_f64 v[48:49], v[100:101], s[16:17], -v[102:103]
	s_delay_alu instid0(VALU_DEP_1) | instskip(SKIP_1) | instid1(VALU_DEP_1)
	v_add_f64_e32 v[46:47], v[48:49], v[46:47]
	;; [unrolled: 5-line block ×6, first 2 shown]
	v_fma_f64 v[48:49], v[96:97], s[36:37], v[189:190]
	v_add_f64_e32 v[48:49], v[48:49], v[76:77]
	v_mul_f64_e32 v[76:77], s[36:37], v[98:99]
	s_delay_alu instid0(VALU_DEP_1) | instskip(SKIP_2) | instid1(VALU_DEP_3)
	v_fma_f64 v[50:51], v[84:85], s[24:25], -v[76:77]
	v_fma_f64 v[62:63], v[84:85], s[24:25], v[76:77]
	v_fma_f64 v[76:77], v[169:170], s[54:55], v[185:186]
	v_add_f64_e32 v[50:51], v[50:51], v[58:59]
	v_mul_f64_e32 v[58:59], s[8:9], v[104:105]
	s_delay_alu instid0(VALU_DEP_4) | instskip(SKIP_1) | instid1(VALU_DEP_3)
	v_add_f64_e32 v[62:63], v[62:63], v[66:67]
	v_fma_f64 v[66:67], v[153:154], s[22:23], v[177:178]
	v_fma_f64 v[98:99], v[108:109], s[0:1], v[58:59]
	;; [unrolled: 1-line block ×3, first 2 shown]
	s_delay_alu instid0(VALU_DEP_2) | instskip(SKIP_1) | instid1(VALU_DEP_3)
	v_add_f64_e32 v[48:49], v[98:99], v[48:49]
	v_mul_f64_e32 v[98:99], s[0:1], v[110:111]
	v_add_f64_e32 v[56:57], v[58:59], v[56:57]
	s_delay_alu instid0(VALU_DEP_2) | instskip(SKIP_1) | instid1(VALU_DEP_2)
	v_fma_f64 v[110:111], v[88:89], s[8:9], -v[98:99]
	v_fma_f64 v[58:59], v[88:89], s[8:9], v[98:99]
	v_add_f64_e32 v[50:51], v[110:111], v[50:51]
	v_mul_f64_e32 v[110:111], s[30:31], v[112:113]
	s_delay_alu instid0(VALU_DEP_3) | instskip(NEXT) | instid1(VALU_DEP_2)
	v_add_f64_e32 v[58:59], v[58:59], v[62:63]
	v_fma_f64 v[191:192], v[120:121], s[38:39], v[110:111]
	v_fma_f64 v[62:63], v[120:121], s[40:41], v[110:111]
	s_delay_alu instid0(VALU_DEP_2) | instskip(SKIP_1) | instid1(VALU_DEP_3)
	v_add_f64_e32 v[48:49], v[191:192], v[48:49]
	v_fma_f64 v[191:192], v[100:101], s[30:31], -v[122:123]
	v_add_f64_e32 v[56:57], v[62:63], v[56:57]
	v_fma_f64 v[62:63], v[100:101], s[30:31], v[122:123]
	s_delay_alu instid0(VALU_DEP_3) | instskip(SKIP_1) | instid1(VALU_DEP_3)
	v_add_f64_e32 v[50:51], v[191:192], v[50:51]
	v_mul_f64_e32 v[191:192], s[20:21], v[129:130]
	v_add_f64_e32 v[58:59], v[62:63], v[58:59]
	s_delay_alu instid0(VALU_DEP_2) | instskip(SKIP_1) | instid1(VALU_DEP_2)
	v_fma_f64 v[193:194], v[137:138], s[56:57], v[191:192]
	v_fma_f64 v[62:63], v[137:138], s[22:23], v[191:192]
	v_add_f64_e32 v[48:49], v[193:194], v[48:49]
	v_fma_f64 v[193:194], v[116:117], s[20:21], -v[147:148]
	s_delay_alu instid0(VALU_DEP_3) | instskip(SKIP_1) | instid1(VALU_DEP_3)
	v_add_f64_e32 v[56:57], v[62:63], v[56:57]
	v_fma_f64 v[62:63], v[116:117], s[20:21], v[147:148]
	v_add_f64_e32 v[50:51], v[193:194], v[50:51]
	v_mul_f64_e32 v[193:194], s[14:15], v[139:140]
	s_delay_alu instid0(VALU_DEP_3) | instskip(NEXT) | instid1(VALU_DEP_2)
	v_add_f64_e32 v[58:59], v[62:63], v[58:59]
	v_fma_f64 v[195:196], v[153:154], s[10:11], v[193:194]
	v_fma_f64 v[62:63], v[153:154], s[52:53], v[193:194]
	s_delay_alu instid0(VALU_DEP_2) | instskip(SKIP_1) | instid1(VALU_DEP_3)
	v_add_f64_e32 v[48:49], v[195:196], v[48:49]
	v_fma_f64 v[195:196], v[124:125], s[14:15], -v[165:166]
	v_add_f64_e32 v[56:57], v[62:63], v[56:57]
	v_fma_f64 v[62:63], v[124:125], s[14:15], v[165:166]
	s_delay_alu instid0(VALU_DEP_3) | instskip(SKIP_1) | instid1(VALU_DEP_3)
	v_add_f64_e32 v[50:51], v[195:196], v[50:51]
	v_mul_f64_e32 v[195:196], s[34:35], v[149:150]
	v_add_f64_e32 v[58:59], v[62:63], v[58:59]
	s_delay_alu instid0(VALU_DEP_2) | instskip(SKIP_1) | instid1(VALU_DEP_2)
	v_fma_f64 v[62:63], v[159:160], s[50:51], v[195:196]
	v_fma_f64 v[197:198], v[159:160], s[44:45], v[195:196]
	v_add_f64_e32 v[56:57], v[62:63], v[56:57]
	v_fma_f64 v[62:63], v[133:134], s[34:35], v[171:172]
	s_delay_alu instid0(VALU_DEP_3) | instskip(SKIP_1) | instid1(VALU_DEP_3)
	v_add_f64_e32 v[48:49], v[197:198], v[48:49]
	v_fma_f64 v[197:198], v[133:134], s[34:35], -v[171:172]
	v_add_f64_e32 v[62:63], v[62:63], v[58:59]
	v_fma_f64 v[58:59], v[169:170], s[18:19], v[199:200]
	s_delay_alu instid0(VALU_DEP_3) | instskip(SKIP_1) | instid1(VALU_DEP_3)
	v_add_f64_e32 v[197:198], v[197:198], v[50:51]
	v_fma_f64 v[50:51], v[169:170], s[46:47], v[199:200]
	v_add_f64_e32 v[58:59], v[58:59], v[56:57]
	v_add_f64_e32 v[56:57], v[64:65], v[62:63]
	v_fma_f64 v[62:63], v[96:97], s[38:39], v[86:87]
	v_fma_f64 v[64:65], v[159:160], s[48:49], v[181:182]
	v_add_f64_e32 v[50:51], v[50:51], v[48:49]
	v_fma_f64 v[48:49], v[143:144], s[16:17], -v[173:174]
	s_delay_alu instid0(VALU_DEP_4)
	v_add_f64_e32 v[62:63], v[62:63], v[78:79]
	v_fma_f64 v[78:79], v[84:85], s[30:31], v[80:81]
	v_mul_f64_e32 v[80:81], s[14:15], v[84:85]
	v_mul_f64_e32 v[84:85], s[16:17], v[88:89]
	v_add_f64_e32 v[48:49], v[48:49], v[197:198]
	v_add_f64_e32 v[60:61], v[60:61], v[62:63]
	;; [unrolled: 1-line block ×3, first 2 shown]
	v_fma_f64 v[62:63], v[88:89], s[14:15], v[90:91]
	v_mul_f64_e32 v[78:79], s[24:25], v[116:117]
	s_delay_alu instid0(VALU_DEP_4) | instskip(SKIP_1) | instid1(VALU_DEP_4)
	v_add_f64_e32 v[60:61], v[74:75], v[60:61]
	v_mul_f64_e32 v[74:75], s[14:15], v[92:93]
	v_add_f64_e32 v[62:63], v[62:63], v[68:69]
	v_fma_f64 v[68:69], v[100:101], s[16:17], v[102:103]
	s_delay_alu instid0(VALU_DEP_4) | instskip(SKIP_1) | instid1(VALU_DEP_3)
	v_add_f64_e32 v[60:61], v[72:73], v[60:61]
	v_mul_f64_e32 v[72:73], s[16:17], v[104:105]
	v_add_f64_e32 v[62:63], v[68:69], v[62:63]
	v_fma_f64 v[68:69], v[116:117], s[34:35], v[175:176]
	s_delay_alu instid0(VALU_DEP_4) | instskip(SKIP_1) | instid1(VALU_DEP_3)
	v_add_f64_e32 v[60:61], v[66:67], v[60:61]
	v_fma_f64 v[66:67], v[124:125], s[20:21], v[179:180]
	v_add_f64_e32 v[62:63], v[68:69], v[62:63]
	v_mul_f64_e32 v[68:69], s[20:21], v[112:113]
	s_delay_alu instid0(VALU_DEP_4) | instskip(SKIP_1) | instid1(VALU_DEP_4)
	v_add_f64_e32 v[60:61], v[64:65], v[60:61]
	v_fma_f64 v[64:65], v[133:134], s[8:9], v[183:184]
	v_add_f64_e32 v[62:63], v[66:67], v[62:63]
	v_fma_f64 v[66:67], v[143:144], s[28:29], v[187:188]
	s_delay_alu instid0(VALU_DEP_2) | instskip(SKIP_2) | instid1(VALU_DEP_3)
	v_add_f64_e32 v[64:65], v[64:65], v[62:63]
	v_add_f64_e32 v[62:63], v[76:77], v[60:61]
	v_mul_f64_e32 v[76:77], s[28:29], v[124:125]
	v_add_f64_e32 v[60:61], v[66:67], v[64:65]
	v_mul_f64_e32 v[64:65], s[28:29], v[139:140]
	v_mul_f64_e32 v[66:67], s[24:25], v[129:130]
	s_wait_loadcnt 0x0
	s_delay_alu instid0(VALU_DEP_2)
	v_add_f64_e32 v[64:65], v[0:1], v[64:65]
	scratch_load_b64 v[0:1], off, off offset:196 th:TH_LOAD_LU ; 8-byte Folded Reload
	s_wait_loadcnt 0x0
	v_add_f64_e32 v[66:67], v[0:1], v[66:67]
	scratch_load_b64 v[0:1], off, off offset:148 th:TH_LOAD_LU ; 8-byte Folded Reload
	s_wait_loadcnt 0x0
	v_add_f64_e32 v[68:69], v[0:1], v[68:69]
	scratch_load_b64 v[0:1], off, off offset:132 th:TH_LOAD_LU ; 8-byte Folded Reload
	s_wait_loadcnt 0x0
	v_add_f64_e32 v[72:73], v[0:1], v[72:73]
	scratch_load_b64 v[0:1], off, off offset:100 th:TH_LOAD_LU ; 8-byte Folded Reload
	s_wait_loadcnt 0x0
	v_add_f64_e32 v[74:75], v[0:1], v[74:75]
	scratch_load_b64 v[0:1], off, off offset:180 th:TH_LOAD_LU ; 8-byte Folded Reload
	v_add_f64_e32 v[74:75], v[74:75], v[82:83]
	s_delay_alu instid0(VALU_DEP_1) | instskip(SKIP_1) | instid1(VALU_DEP_2)
	v_add_f64_e32 v[72:73], v[72:73], v[74:75]
	v_mul_f64_e32 v[74:75], s[30:31], v[149:150]
	v_add_f64_e32 v[68:69], v[68:69], v[72:73]
	v_mul_f64_e32 v[72:73], s[30:31], v[133:134]
	s_delay_alu instid0(VALU_DEP_3) | instskip(NEXT) | instid1(VALU_DEP_3)
	v_add_f64_e32 v[74:75], v[151:152], v[74:75]
	v_add_f64_e32 v[66:67], v[66:67], v[68:69]
	s_delay_alu instid0(VALU_DEP_1) | instskip(NEXT) | instid1(VALU_DEP_1)
	v_add_f64_e32 v[64:65], v[64:65], v[66:67]
	v_add_f64_e32 v[64:65], v[74:75], v[64:65]
	s_wait_loadcnt 0x0
	v_add_f64_e64 v[76:77], v[76:77], -v[0:1]
	scratch_load_b64 v[0:1], off, off offset:164 th:TH_LOAD_LU ; 8-byte Folded Reload
	s_wait_loadcnt 0x0
	v_add_f64_e64 v[78:79], v[78:79], -v[0:1]
	scratch_load_b64 v[0:1], off, off offset:8 th:TH_LOAD_LU ; 8-byte Folded Reload
	;; [unrolled: 3-line block ×3, first 2 shown]
	v_add_f64_e32 v[70:71], v[80:81], v[70:71]
	v_mul_f64_e32 v[80:81], s[20:21], v[100:101]
	s_wait_loadcnt 0x0
	v_add_f64_e64 v[84:85], v[84:85], -v[0:1]
	scratch_load_b64 v[0:1], off, off offset:116 th:TH_LOAD_LU ; 8-byte Folded Reload
	v_add_f64_e32 v[70:71], v[84:85], v[70:71]
	s_wait_loadcnt 0x0
	v_add_f64_e64 v[80:81], v[80:81], -v[0:1]
	scratch_load_b64 v[0:1], off, off offset:212 th:TH_LOAD_LU ; 8-byte Folded Reload
	v_add_f64_e32 v[70:71], v[80:81], v[70:71]
	s_delay_alu instid0(VALU_DEP_1) | instskip(SKIP_1) | instid1(VALU_DEP_2)
	v_add_f64_e32 v[68:69], v[78:79], v[70:71]
	v_mul_f64_e32 v[70:71], s[34:35], v[155:156]
	v_add_f64_e32 v[66:67], v[76:77], v[68:69]
	v_mul_f64_e32 v[68:69], s[34:35], v[143:144]
	s_delay_alu instid0(VALU_DEP_3)
	v_add_f64_e32 v[70:71], v[157:158], v[70:71]
	s_wait_loadcnt 0x0
	v_add_f64_e64 v[72:73], v[72:73], -v[0:1]
	scratch_load_b64 v[0:1], off, off offset:232 th:TH_LOAD_LU ; 8-byte Folded Reload
	v_add_f64_e32 v[72:73], v[72:73], v[66:67]
	v_add_f64_e32 v[66:67], v[70:71], v[64:65]
	s_wait_loadcnt 0x0
	v_add_f64_e64 v[68:69], v[68:69], -v[0:1]
	v_mul_lo_u16 v0, v255, 17
	s_delay_alu instid0(VALU_DEP_1) | instskip(NEXT) | instid1(VALU_DEP_1)
	v_and_b32_e32 v0, 0xffff, v0
	v_add_lshl_u32 v0, v128, v0, 4
	ds_store_b128 v0, v[32:35] offset:32
	ds_store_b128 v0, v[36:39] offset:48
	;; [unrolled: 1-line block ×7, first 2 shown]
	scratch_load_b128 v[1:4], off, off offset:52 ; 16-byte Folded Reload
	v_add_f64_e32 v[64:65], v[68:69], v[72:73]
	s_wait_loadcnt 0x0
	ds_store_b128 v0, v[1:4] offset:224
	scratch_load_b128 v[1:4], off, off offset:36 ; 16-byte Folded Reload
	s_wait_loadcnt 0x0
	ds_store_b128 v0, v[1:4] offset:240
	ds_store_b128 v0, v[16:19] offset:144
	;; [unrolled: 1-line block ×4, first 2 shown]
	scratch_load_b128 v[1:4], off, off offset:68 ; 16-byte Folded Reload
	s_wait_loadcnt 0x0
	ds_store_b128 v0, v[1:4] offset:208
	ds_store_b128 v0, v[60:63] offset:192
	;; [unrolled: 1-line block ×3, first 2 shown]
	ds_store_b128 v0, v[20:23]
	scratch_load_b128 v[1:4], off, off offset:20 ; 16-byte Folded Reload
	s_wait_loadcnt 0x0
	ds_store_b128 v0, v[1:4] offset:256
.LBB0_7:
	s_or_b32 exec_lo, exec_lo, s33
	v_mul_u32_u24_e32 v0, 12, v255
	s_load_b128 s[0:3], s[2:3], 0x0
	global_wb scope:SCOPE_SE
	s_wait_dscnt 0x0
	s_wait_kmcnt 0x0
	s_barrier_signal -1
	s_barrier_wait -1
	v_lshlrev_b32_e32 v60, 4, v0
	global_inv scope:SCOPE_SE
	v_add_lshl_u32 v128, v128, v255, 4
	s_mov_b32 s20, 0x2ef20147
	s_mov_b32 s21, 0xbfedeba7
	s_clause 0x3
	global_load_b128 v[52:55], v60, s[6:7]
	global_load_b128 v[0:3], v60, s[6:7] offset:176
	global_load_b128 v[8:11], v60, s[6:7] offset:16
	;; [unrolled: 1-line block ×3, first 2 shown]
	ds_load_b128 v[36:39], v128 offset:272
	ds_load_b128 v[32:35], v128 offset:3264
	ds_load_b128 v[64:67], v128
	ds_load_b128 v[40:43], v128 offset:544
	s_mov_b32 s26, 0x42a4c3d2
	s_mov_b32 s28, 0x66966769
	;; [unrolled: 1-line block ×21, first 2 shown]
	s_wait_alu 0xfffe
	s_mov_b32 s36, s24
	s_mov_b32 s35, 0x3fefc445
	;; [unrolled: 1-line block ×5, first 2 shown]
	s_wait_loadcnt_dscnt 0x303
	v_mul_f64_e32 v[44:45], v[38:39], v[54:55]
	v_mul_f64_e32 v[46:47], v[36:37], v[54:55]
	s_wait_loadcnt_dscnt 0x202
	v_mul_f64_e32 v[48:49], v[32:33], v[2:3]
	v_mul_f64_e32 v[50:51], v[34:35], v[2:3]
	scratch_store_b128 off, v[0:3], off offset:84 ; 16-byte Folded Spill
	s_wait_loadcnt 0x1
	scratch_store_b128 off, v[8:11], off offset:116 ; 16-byte Folded Spill
	v_fma_f64 v[80:81], v[36:37], v[52:53], -v[44:45]
	v_fma_f64 v[82:83], v[38:39], v[52:53], v[46:47]
	ds_load_b128 v[36:39], v128 offset:816
	v_fma_f64 v[70:71], v[34:35], v[0:1], v[48:49]
	v_fma_f64 v[68:69], v[32:33], v[0:1], -v[50:51]
	s_wait_dscnt 0x1
	v_mul_f64_e32 v[32:33], v[42:43], v[10:11]
	v_mul_f64_e32 v[34:35], v[40:41], v[10:11]
	s_delay_alu instid0(VALU_DEP_4) | instskip(NEXT) | instid1(VALU_DEP_4)
	v_add_f64_e32 v[106:107], v[82:83], v[70:71]
	v_add_f64_e32 v[88:89], v[80:81], v[68:69]
	s_delay_alu instid0(VALU_DEP_4) | instskip(NEXT) | instid1(VALU_DEP_4)
	v_fma_f64 v[120:121], v[40:41], v[8:9], -v[32:33]
	v_fma_f64 v[122:123], v[42:43], v[8:9], v[34:35]
	ds_load_b128 v[32:35], v128 offset:2992
	ds_load_b128 v[40:43], v128 offset:2720
	s_wait_loadcnt 0x0
	scratch_store_b128 off, v[4:7], off offset:100 ; 16-byte Folded Spill
	s_wait_dscnt 0x1
	v_mul_f64_e32 v[44:45], v[32:33], v[6:7]
	s_delay_alu instid0(VALU_DEP_1) | instskip(SKIP_4) | instid1(VALU_DEP_1)
	v_fma_f64 v[116:117], v[34:35], v[4:5], v[44:45]
	s_clause 0x1
	global_load_b128 v[0:3], v60, s[6:7] offset:32
	global_load_b128 v[44:47], v60, s[6:7] offset:48
	v_mul_f64_e32 v[34:35], v[34:35], v[6:7]
	v_fma_f64 v[118:119], v[32:33], v[4:5], -v[34:35]
	s_delay_alu instid0(VALU_DEP_1) | instskip(SKIP_1) | instid1(VALU_DEP_1)
	v_add_f64_e64 v[183:184], v[120:121], -v[118:119]
	s_wait_alu 0xfffe
	v_mul_f64_e32 v[12:13], s[36:37], v[183:184]
	s_wait_loadcnt 0x1
	v_mul_f64_e32 v[48:49], v[38:39], v[2:3]
	scratch_store_b128 off, v[0:3], off offset:148 ; 16-byte Folded Spill
	v_fma_f64 v[129:130], v[36:37], v[0:1], -v[48:49]
	v_mul_f64_e32 v[36:37], v[36:37], v[2:3]
	s_delay_alu instid0(VALU_DEP_1)
	v_fma_f64 v[131:132], v[38:39], v[0:1], v[36:37]
	s_clause 0x1
	global_load_b128 v[4:7], v60, s[6:7] offset:144
	global_load_b128 v[0:3], v60, s[6:7] offset:128
	s_wait_loadcnt_dscnt 0x100
	v_mul_f64_e32 v[48:49], v[40:41], v[6:7]
	scratch_store_b128 off, v[4:7], off offset:180 ; 16-byte Folded Spill
	v_fma_f64 v[124:125], v[42:43], v[4:5], v[48:49]
	v_mul_f64_e32 v[42:43], v[42:43], v[6:7]
	s_delay_alu instid0(VALU_DEP_2) | instskip(NEXT) | instid1(VALU_DEP_2)
	v_add_f64_e64 v[185:186], v[131:132], -v[124:125]
	v_fma_f64 v[126:127], v[40:41], v[4:5], -v[42:43]
	ds_load_b128 v[40:43], v128 offset:1088
	ds_load_b128 v[48:51], v128 offset:1360
	s_wait_dscnt 0x1
	v_mul_f64_e32 v[56:57], v[40:41], v[46:47]
	v_add_f64_e64 v[196:197], v[129:130], -v[126:127]
	s_delay_alu instid0(VALU_DEP_2) | instskip(SKIP_1) | instid1(VALU_DEP_3)
	v_fma_f64 v[137:138], v[42:43], v[44:45], v[56:57]
	v_mul_f64_e32 v[42:43], v[42:43], v[46:47]
	v_mul_f64_e32 v[232:233], s[30:31], v[196:197]
	;; [unrolled: 1-line block ×3, first 2 shown]
	s_delay_alu instid0(VALU_DEP_3)
	v_fma_f64 v[139:140], v[40:41], v[44:45], -v[42:43]
	ds_load_b128 v[40:43], v128 offset:2448
	ds_load_b128 v[72:75], v128 offset:2176
	s_wait_loadcnt 0x0
	scratch_store_b128 off, v[0:3], off offset:132 ; 16-byte Folded Spill
	s_wait_dscnt 0x1
	v_mul_f64_e32 v[56:57], v[40:41], v[2:3]
	s_delay_alu instid0(VALU_DEP_1) | instskip(SKIP_1) | instid1(VALU_DEP_2)
	v_fma_f64 v[133:134], v[42:43], v[0:1], v[56:57]
	v_mul_f64_e32 v[42:43], v[42:43], v[2:3]
	v_add_f64_e64 v[198:199], v[137:138], -v[133:134]
	s_delay_alu instid0(VALU_DEP_2)
	v_fma_f64 v[135:136], v[40:41], v[0:1], -v[42:43]
	s_clause 0x1
	global_load_b128 v[0:3], v60, s[6:7] offset:64
	global_load_b128 v[56:59], v60, s[6:7] offset:80
	v_add_f64_e32 v[202:203], v[137:138], v[133:134]
	v_mul_f64_e32 v[234:235], s[36:37], v[198:199]
	v_add_f64_e64 v[200:201], v[139:140], -v[135:136]
	s_delay_alu instid0(VALU_DEP_1) | instskip(SKIP_2) | instid1(VALU_DEP_1)
	v_mul_f64_e32 v[204:205], s[20:21], v[200:201]
	v_mul_f64_e32 v[236:237], s[36:37], v[200:201]
	;; [unrolled: 1-line block ×3, first 2 shown]
	v_fma_f64 v[22:23], v[202:203], s[16:17], v[20:21]
	s_wait_loadcnt 0x1
	v_mul_f64_e32 v[61:62], v[50:51], v[2:3]
	scratch_store_b128 off, v[0:3], off offset:196 ; 16-byte Folded Spill
	v_fma_f64 v[141:142], v[48:49], v[0:1], -v[61:62]
	v_mul_f64_e32 v[48:49], v[48:49], v[2:3]
	s_delay_alu instid0(VALU_DEP_1) | instskip(SKIP_4) | instid1(VALU_DEP_1)
	v_fma_f64 v[143:144], v[50:51], v[0:1], v[48:49]
	ds_load_b128 v[48:51], v128 offset:1632
	ds_load_b128 v[76:79], v128 offset:1904
	s_wait_loadcnt_dscnt 0x1
	v_mul_f64_e32 v[61:62], v[50:51], v[58:59]
	v_fma_f64 v[145:146], v[48:49], v[56:57], -v[61:62]
	s_clause 0x1
	global_load_b128 v[0:3], v60, s[6:7] offset:96
	global_load_b128 v[60:63], v60, s[6:7] offset:112
	s_mov_b32 s6, 0x93053d00
	s_mov_b32 s7, 0xbfef11f4
	v_mul_f64_e32 v[48:49], v[48:49], v[58:59]
	scratch_store_b32 off, v255, off offset:8 ; 4-byte Folded Spill
	v_fma_f64 v[147:148], v[50:51], v[56:57], v[48:49]
	v_add_f64_e32 v[48:49], v[64:65], v[80:81]
	v_add_f64_e32 v[50:51], v[66:67], v[82:83]
	s_wait_loadcnt_dscnt 0x100
	v_mul_f64_e32 v[84:85], v[78:79], v[2:3]
	scratch_store_b128 off, v[0:3], off offset:164 ; 16-byte Folded Spill
	v_fma_f64 v[149:150], v[76:77], v[0:1], -v[84:85]
	v_mul_f64_e32 v[76:77], v[76:77], v[2:3]
	s_delay_alu instid0(VALU_DEP_2) | instskip(NEXT) | instid1(VALU_DEP_2)
	v_add_f64_e32 v[220:221], v[145:146], v[149:150]
	v_fma_f64 v[151:152], v[78:79], v[0:1], v[76:77]
	s_wait_loadcnt 0x0
	v_mul_f64_e32 v[76:77], v[74:75], v[62:63]
	v_add_f64_e64 v[224:225], v[145:146], -v[149:150]
	s_delay_alu instid0(VALU_DEP_3) | instskip(NEXT) | instid1(VALU_DEP_3)
	v_add_f64_e64 v[218:219], v[147:148], -v[151:152]
	v_fma_f64 v[153:154], v[72:73], v[60:61], -v[76:77]
	v_mul_f64_e32 v[72:73], v[72:73], v[62:63]
	v_add_f64_e32 v[226:227], v[147:148], v[151:152]
	v_mul_f64_e32 v[228:229], s[30:31], v[224:225]
	v_mul_f64_e32 v[8:9], s[24:25], v[224:225]
	;; [unrolled: 1-line block ×3, first 2 shown]
	v_add_f64_e32 v[208:209], v[141:142], v[153:154]
	v_fma_f64 v[155:156], v[74:75], v[60:61], v[72:73]
	v_add_f64_e64 v[72:73], v[82:83], -v[70:71]
	v_add_f64_e64 v[212:213], v[141:142], -v[153:154]
	v_fma_f64 v[10:11], v[226:227], s[8:9], v[8:9]
	v_mul_f64_e32 v[40:41], s[20:21], v[218:219]
	v_add_f64_e64 v[206:207], v[143:144], -v[155:156]
	v_mul_f64_e32 v[84:85], s[20:21], v[72:73]
	v_mul_f64_e32 v[74:75], s[22:23], v[72:73]
	;; [unrolled: 1-line block ×6, first 2 shown]
	v_add_f64_e32 v[214:215], v[143:144], v[155:156]
	v_mul_f64_e32 v[216:217], s[24:25], v[212:213]
	v_mul_f64_e32 v[240:241], s[34:35], v[212:213]
	;; [unrolled: 1-line block ×3, first 2 shown]
	v_fma_f64 v[42:43], v[220:221], s[10:11], -v[40:41]
	v_mul_f64_e32 v[210:211], s[24:25], v[206:207]
	v_fma_f64 v[96:97], v[88:89], s[10:11], -v[84:85]
	v_fma_f64 v[98:99], v[88:89], s[10:11], v[84:85]
	v_add_f64_e64 v[84:85], v[80:81], -v[68:69]
	v_fma_f64 v[90:91], v[88:89], s[18:19], -v[74:75]
	v_fma_f64 v[74:75], v[88:89], s[18:19], v[74:75]
	v_fma_f64 v[92:93], v[88:89], s[14:15], -v[76:77]
	v_fma_f64 v[76:77], v[88:89], s[14:15], v[76:77]
	;; [unrolled: 2-line block ×4, first 2 shown]
	s_wait_alu 0xfffe
	v_fma_f64 v[161:162], v[88:89], s[6:7], -v[72:73]
	v_fma_f64 v[72:73], v[88:89], s[6:7], v[72:73]
	v_mul_f64_e32 v[238:239], s[34:35], v[206:207]
	v_mul_f64_e32 v[2:3], s[26:27], v[206:207]
	v_fma_f64 v[6:7], v[214:215], s[14:15], v[4:5]
	v_add_f64_e32 v[82:83], v[64:65], v[96:97]
	v_mul_f64_e32 v[88:89], s[26:27], v[84:85]
	v_mul_f64_e32 v[104:105], s[24:25], v[84:85]
	;; [unrolled: 1-line block ×6, first 2 shown]
	v_add_f64_e32 v[192:193], v[64:65], v[94:95]
	v_add_f64_e32 v[0:1], v[64:65], v[90:91]
	;; [unrolled: 1-line block ×8, first 2 shown]
	s_mov_b32 s23, 0x3fddbe06
	s_wait_alu 0xfffe
	v_mul_f64_e32 v[242:243], s[22:23], v[218:219]
	v_mul_f64_e32 v[244:245], s[22:23], v[224:225]
	;; [unrolled: 1-line block ×5, first 2 shown]
	v_fma_f64 v[163:164], v[106:107], s[14:15], v[88:89]
	v_fma_f64 v[88:89], v[106:107], s[14:15], -v[88:89]
	v_fma_f64 v[173:174], v[106:107], s[8:9], v[104:105]
	v_fma_f64 v[165:166], v[106:107], s[16:17], v[100:101]
	v_fma_f64 v[167:168], v[106:107], s[16:17], -v[100:101]
	v_fma_f64 v[108:109], v[106:107], s[18:19], v[86:87]
	v_fma_f64 v[110:111], v[106:107], s[18:19], -v[86:87]
	;; [unrolled: 2-line block ×3, first 2 shown]
	v_fma_f64 v[175:176], v[106:107], s[8:9], -v[104:105]
	v_fma_f64 v[177:178], v[106:107], s[6:7], v[84:85]
	v_fma_f64 v[179:180], v[106:107], s[6:7], -v[84:85]
	v_add_f64_e32 v[102:103], v[64:65], v[76:77]
	v_add_f64_e32 v[106:107], v[64:65], v[78:79]
	scratch_store_b64 off, v[0:1], off offset:212 ; 8-byte Folded Spill
	v_fma_f64 v[38:39], v[208:209], s[18:19], -v[36:37]
	v_add_f64_e32 v[190:191], v[66:67], v[163:164]
	v_add_f64_e32 v[100:101], v[66:67], v[88:89]
	;; [unrolled: 1-line block ×3, first 2 shown]
	v_add_f64_e64 v[173:174], v[122:123], -v[116:117]
	v_add_f64_e32 v[194:195], v[66:67], v[165:166]
	v_add_f64_e32 v[86:87], v[66:67], v[108:109]
	;; [unrolled: 1-line block ×9, first 2 shown]
	v_mul_f64_e32 v[167:168], s[26:27], v[183:184]
	v_add_f64_e32 v[169:170], v[129:130], v[126:127]
	v_mul_f64_e32 v[171:172], s[28:29], v[185:186]
	v_add_f64_e32 v[112:113], v[66:67], v[175:176]
	v_add_f64_e32 v[92:93], v[66:67], v[177:178]
	;; [unrolled: 1-line block ×4, first 2 shown]
	v_mul_f64_e32 v[177:178], s[28:29], v[196:197]
	v_add_f64_e32 v[179:180], v[139:140], v[135:136]
	v_mul_f64_e32 v[163:164], s[26:27], v[173:174]
	v_mul_f64_e32 v[230:231], s[20:21], v[173:174]
	;; [unrolled: 1-line block ×3, first 2 shown]
	v_fma_f64 v[14:15], v[165:166], s[8:9], v[12:13]
	v_fma_f64 v[66:67], v[165:166], s[14:15], -v[167:168]
	v_fma_f64 v[12:13], v[165:166], s[8:9], -v[12:13]
	v_fma_f64 v[72:73], v[169:170], s[16:17], v[171:172]
	v_fma_f64 v[18:19], v[175:176], s[18:19], v[16:17]
	;; [unrolled: 1-line block ×3, first 2 shown]
	v_fma_f64 v[28:29], v[175:176], s[14:15], -v[28:29]
	v_fma_f64 v[64:65], v[161:162], s[14:15], v[163:164]
	v_add_f64_e32 v[14:15], v[14:15], v[80:81]
	v_add_f64_e32 v[66:67], v[66:67], v[181:182]
	v_mul_f64_e32 v[181:182], s[20:21], v[198:199]
	v_fma_f64 v[80:81], v[169:170], s[18:19], -v[254:255]
	v_add_f64_e32 v[12:13], v[12:13], v[108:109]
	v_add_f64_e32 v[64:65], v[64:65], v[74:75]
	v_add_f64_e32 v[14:15], v[18:19], v[14:15]
	v_mul_f64_e32 v[18:19], s[28:29], v[198:199]
	s_mov_b32 s29, 0x3fea55e2
	s_mov_b32 s28, s26
	s_delay_alu instid0(VALU_DEP_3) | instskip(SKIP_1) | instid1(VALU_DEP_4)
	v_add_f64_e32 v[64:65], v[72:73], v[64:65]
	v_fma_f64 v[72:73], v[175:176], s[16:17], -v[177:178]
	v_add_f64_e32 v[14:15], v[22:23], v[14:15]
	s_delay_alu instid0(VALU_DEP_2) | instskip(SKIP_1) | instid1(VALU_DEP_1)
	v_add_f64_e32 v[66:67], v[72:73], v[66:67]
	v_fma_f64 v[72:73], v[179:180], s[10:11], v[181:182]
	v_add_f64_e32 v[64:65], v[72:73], v[64:65]
	v_fma_f64 v[72:73], v[202:203], s[10:11], -v[204:205]
	s_delay_alu instid0(VALU_DEP_1) | instskip(SKIP_1) | instid1(VALU_DEP_1)
	v_add_f64_e32 v[66:67], v[72:73], v[66:67]
	v_fma_f64 v[72:73], v[208:209], s[8:9], v[210:211]
	v_add_f64_e32 v[64:65], v[72:73], v[64:65]
	v_fma_f64 v[72:73], v[214:215], s[8:9], -v[216:217]
	s_delay_alu instid0(VALU_DEP_1) | instskip(SKIP_1) | instid1(VALU_DEP_1)
	;; [unrolled: 5-line block ×3, first 2 shown]
	v_add_f64_e32 v[78:79], v[64:65], v[66:67]
	v_fma_f64 v[64:65], v[161:162], s[10:11], -v[230:231]
	v_add_f64_e32 v[64:65], v[64:65], v[188:189]
	v_mul_f64_e32 v[188:189], s[20:21], v[183:184]
	s_delay_alu instid0(VALU_DEP_1) | instskip(NEXT) | instid1(VALU_DEP_1)
	v_fma_f64 v[66:67], v[165:166], s[10:11], v[188:189]
	v_add_f64_e32 v[66:67], v[66:67], v[190:191]
	v_mul_f64_e32 v[190:191], s[30:31], v[185:186]
	s_delay_alu instid0(VALU_DEP_1) | instskip(NEXT) | instid1(VALU_DEP_1)
	v_fma_f64 v[72:73], v[169:170], s[6:7], -v[190:191]
	v_add_f64_e32 v[64:65], v[72:73], v[64:65]
	v_fma_f64 v[72:73], v[175:176], s[6:7], v[232:233]
	s_delay_alu instid0(VALU_DEP_1) | instskip(SKIP_1) | instid1(VALU_DEP_1)
	v_add_f64_e32 v[66:67], v[72:73], v[66:67]
	v_fma_f64 v[72:73], v[179:180], s[8:9], -v[234:235]
	v_add_f64_e32 v[64:65], v[72:73], v[64:65]
	v_fma_f64 v[72:73], v[202:203], s[8:9], v[236:237]
	s_delay_alu instid0(VALU_DEP_1) | instskip(SKIP_1) | instid1(VALU_DEP_1)
	v_add_f64_e32 v[66:67], v[72:73], v[66:67]
	;; [unrolled: 5-line block ×4, first 2 shown]
	v_fma_f64 v[72:73], v[161:162], s[6:7], -v[246:247]
	v_add_f64_e32 v[72:73], v[72:73], v[192:193]
	v_mul_f64_e32 v[192:193], s[30:31], v[183:184]
	s_mov_b32 s31, 0x3fcea1e5
	s_wait_alu 0xfffe
	v_mul_f64_e32 v[24:25], s[30:31], v[212:213]
	v_mul_f64_e32 v[22:23], s[30:31], v[206:207]
	;; [unrolled: 1-line block ×3, first 2 shown]
	s_delay_alu instid0(VALU_DEP_4) | instskip(NEXT) | instid1(VALU_DEP_4)
	v_fma_f64 v[74:75], v[165:166], s[6:7], v[192:193]
	v_fma_f64 v[26:27], v[214:215], s[6:7], v[24:25]
	s_delay_alu instid0(VALU_DEP_3) | instskip(NEXT) | instid1(VALU_DEP_3)
	v_fma_f64 v[34:35], v[179:180], s[6:7], -v[32:33]
	v_add_f64_e32 v[74:75], v[74:75], v[194:195]
	v_mul_f64_e32 v[194:195], s[38:39], v[185:186]
	s_delay_alu instid0(VALU_DEP_4) | instskip(SKIP_1) | instid1(VALU_DEP_3)
	v_add_f64_e32 v[14:15], v[26:27], v[14:15]
	v_mul_f64_e32 v[26:27], s[28:29], v[218:219]
	v_fma_f64 v[248:249], v[169:170], s[10:11], -v[194:195]
	s_delay_alu instid0(VALU_DEP_1) | instskip(SKIP_1) | instid1(VALU_DEP_1)
	v_add_f64_e32 v[72:73], v[248:249], v[72:73]
	v_mul_f64_e32 v[248:249], s[38:39], v[196:197]
	v_fma_f64 v[250:251], v[175:176], s[10:11], v[248:249]
	s_delay_alu instid0(VALU_DEP_1) | instskip(SKIP_1) | instid1(VALU_DEP_1)
	v_add_f64_e32 v[74:75], v[250:251], v[74:75]
	v_mul_f64_e32 v[250:251], s[22:23], v[198:199]
	v_fma_f64 v[252:253], v[179:180], s[18:19], -v[250:251]
	s_delay_alu instid0(VALU_DEP_1) | instskip(SKIP_1) | instid1(VALU_DEP_1)
	v_add_f64_e32 v[72:73], v[252:253], v[72:73]
	v_mul_f64_e32 v[252:253], s[22:23], v[200:201]
	v_fma_f64 v[0:1], v[202:203], s[18:19], v[252:253]
	s_delay_alu instid0(VALU_DEP_1) | instskip(SKIP_2) | instid1(VALU_DEP_3)
	v_add_f64_e32 v[0:1], v[0:1], v[74:75]
	v_fma_f64 v[74:75], v[208:209], s[14:15], -v[2:3]
	v_fma_f64 v[2:3], v[208:209], s[14:15], v[2:3]
	v_add_f64_e32 v[0:1], v[6:7], v[0:1]
	v_mul_f64_e32 v[6:7], s[24:25], v[218:219]
	s_delay_alu instid0(VALU_DEP_4) | instskip(NEXT) | instid1(VALU_DEP_2)
	v_add_f64_e32 v[72:73], v[74:75], v[72:73]
	v_fma_f64 v[74:75], v[220:221], s[8:9], -v[6:7]
	s_delay_alu instid0(VALU_DEP_1) | instskip(SKIP_2) | instid1(VALU_DEP_1)
	v_add_f64_e32 v[72:73], v[74:75], v[72:73]
	v_add_f64_e32 v[74:75], v[10:11], v[0:1]
	v_mul_f64_e32 v[0:1], s[36:37], v[173:174]
	v_fma_f64 v[10:11], v[161:162], s[8:9], -v[0:1]
	v_fma_f64 v[0:1], v[161:162], s[8:9], v[0:1]
	s_delay_alu instid0(VALU_DEP_2) | instskip(NEXT) | instid1(VALU_DEP_2)
	v_add_f64_e32 v[10:11], v[10:11], v[82:83]
	v_add_f64_e32 v[0:1], v[0:1], v[110:111]
	s_delay_alu instid0(VALU_DEP_2) | instskip(SKIP_1) | instid1(VALU_DEP_1)
	v_add_f64_e32 v[10:11], v[80:81], v[10:11]
	v_fma_f64 v[80:81], v[179:180], s[16:17], -v[18:19]
	v_add_f64_e32 v[10:11], v[80:81], v[10:11]
	v_fma_f64 v[80:81], v[208:209], s[6:7], -v[22:23]
	s_delay_alu instid0(VALU_DEP_1) | instskip(SKIP_1) | instid1(VALU_DEP_1)
	v_add_f64_e32 v[10:11], v[80:81], v[10:11]
	v_fma_f64 v[80:81], v[220:221], s[14:15], -v[26:27]
	v_add_f64_e32 v[80:81], v[80:81], v[10:11]
	v_mul_f64_e32 v[10:11], s[28:29], v[224:225]
	s_delay_alu instid0(VALU_DEP_1) | instskip(SKIP_1) | instid1(VALU_DEP_2)
	v_fma_f64 v[82:83], v[226:227], s[14:15], v[10:11]
	v_fma_f64 v[10:11], v[226:227], s[14:15], -v[10:11]
	v_add_f64_e32 v[82:83], v[82:83], v[14:15]
	v_mul_f64_e32 v[14:15], s[34:35], v[173:174]
	s_delay_alu instid0(VALU_DEP_1) | instskip(SKIP_1) | instid1(VALU_DEP_2)
	v_fma_f64 v[157:158], v[161:162], s[16:17], -v[14:15]
	v_fma_f64 v[14:15], v[161:162], s[16:17], v[14:15]
	v_add_f64_e32 v[90:91], v[157:158], v[90:91]
	v_mul_f64_e32 v[157:158], s[34:35], v[183:184]
	s_delay_alu instid0(VALU_DEP_3) | instskip(NEXT) | instid1(VALU_DEP_2)
	v_add_f64_e32 v[14:15], v[14:15], v[114:115]
	v_fma_f64 v[159:160], v[165:166], s[16:17], v[157:158]
	s_delay_alu instid0(VALU_DEP_1) | instskip(SKIP_1) | instid1(VALU_DEP_2)
	v_add_f64_e32 v[88:89], v[159:160], v[88:89]
	v_mul_f64_e32 v[159:160], s[26:27], v[185:186]
	v_add_f64_e32 v[30:31], v[30:31], v[88:89]
	s_delay_alu instid0(VALU_DEP_2) | instskip(NEXT) | instid1(VALU_DEP_1)
	v_fma_f64 v[84:85], v[169:170], s[14:15], -v[159:160]
	v_add_f64_e32 v[84:85], v[84:85], v[90:91]
	s_delay_alu instid0(VALU_DEP_1) | instskip(SKIP_1) | instid1(VALU_DEP_2)
	v_add_f64_e32 v[34:35], v[34:35], v[84:85]
	v_mul_f64_e32 v[84:85], s[30:31], v[200:201]
	v_add_f64_e32 v[34:35], v[38:39], v[34:35]
	s_delay_alu instid0(VALU_DEP_2) | instskip(SKIP_1) | instid1(VALU_DEP_2)
	v_fma_f64 v[88:89], v[202:203], s[6:7], v[84:85]
	v_mul_f64_e32 v[38:39], s[22:23], v[212:213]
	v_add_f64_e32 v[30:31], v[88:89], v[30:31]
	s_delay_alu instid0(VALU_DEP_2) | instskip(NEXT) | instid1(VALU_DEP_1)
	v_fma_f64 v[88:89], v[214:215], s[18:19], v[38:39]
	v_add_f64_e32 v[30:31], v[88:89], v[30:31]
	v_add_f64_e32 v[88:89], v[42:43], v[34:35]
	v_mul_f64_e32 v[34:35], s[20:21], v[224:225]
	s_delay_alu instid0(VALU_DEP_1) | instskip(NEXT) | instid1(VALU_DEP_1)
	v_fma_f64 v[42:43], v[226:227], s[10:11], v[34:35]
	v_add_f64_e32 v[90:91], v[42:43], v[30:31]
	v_mul_f64_e32 v[30:31], s[22:23], v[173:174]
	v_mul_f64_e32 v[173:174], s[22:23], v[183:184]
	;; [unrolled: 1-line block ×10, first 2 shown]
	v_fma_f64 v[42:43], v[161:162], s[18:19], -v[30:31]
	v_fma_f64 v[30:31], v[161:162], s[18:19], v[30:31]
	s_delay_alu instid0(VALU_DEP_2) | instskip(SKIP_1) | instid1(VALU_DEP_3)
	v_add_f64_e32 v[42:43], v[42:43], v[94:95]
	v_fma_f64 v[94:95], v[165:166], s[18:19], v[173:174]
	v_add_f64_e32 v[30:31], v[30:31], v[98:99]
	v_fma_f64 v[98:99], v[226:227], s[16:17], -v[218:219]
	s_delay_alu instid0(VALU_DEP_3) | instskip(SKIP_1) | instid1(VALU_DEP_1)
	v_add_f64_e32 v[92:93], v[94:95], v[92:93]
	v_fma_f64 v[94:95], v[169:170], s[8:9], -v[183:184]
	v_add_f64_e32 v[42:43], v[94:95], v[42:43]
	v_fma_f64 v[94:95], v[175:176], s[8:9], v[185:186]
	s_delay_alu instid0(VALU_DEP_1) | instskip(SKIP_1) | instid1(VALU_DEP_1)
	v_add_f64_e32 v[92:93], v[94:95], v[92:93]
	v_fma_f64 v[94:95], v[179:180], s[14:15], -v[196:197]
	v_add_f64_e32 v[42:43], v[94:95], v[42:43]
	v_fma_f64 v[94:95], v[202:203], s[14:15], v[198:199]
	s_delay_alu instid0(VALU_DEP_1) | instskip(SKIP_1) | instid1(VALU_DEP_1)
	;; [unrolled: 5-line block ×7, first 2 shown]
	v_add_f64_e32 v[30:31], v[96:97], v[30:31]
	v_fma_f64 v[96:97], v[214:215], s[10:11], -v[206:207]
	v_add_f64_e32 v[42:43], v[96:97], v[42:43]
	v_fma_f64 v[96:97], v[220:221], s[16:17], v[212:213]
	s_delay_alu instid0(VALU_DEP_2) | instskip(NEXT) | instid1(VALU_DEP_2)
	v_add_f64_e32 v[98:99], v[98:99], v[42:43]
	v_add_f64_e32 v[96:97], v[96:97], v[30:31]
	v_fma_f64 v[30:31], v[165:166], s[16:17], -v[157:158]
	v_fma_f64 v[42:43], v[169:170], s[14:15], v[159:160]
	s_delay_alu instid0(VALU_DEP_2) | instskip(NEXT) | instid1(VALU_DEP_2)
	v_add_f64_e32 v[30:31], v[30:31], v[112:113]
	v_add_f64_e32 v[14:15], v[42:43], v[14:15]
	s_delay_alu instid0(VALU_DEP_2) | instskip(SKIP_2) | instid1(VALU_DEP_2)
	v_add_f64_e32 v[28:29], v[28:29], v[30:31]
	v_fma_f64 v[30:31], v[179:180], s[6:7], v[32:33]
	v_fma_f64 v[32:33], v[226:227], s[10:11], -v[34:35]
	v_add_f64_e32 v[14:15], v[30:31], v[14:15]
	v_fma_f64 v[30:31], v[202:203], s[6:7], -v[84:85]
	s_delay_alu instid0(VALU_DEP_1) | instskip(SKIP_1) | instid1(VALU_DEP_1)
	v_add_f64_e32 v[28:29], v[30:31], v[28:29]
	v_fma_f64 v[30:31], v[208:209], s[18:19], v[36:37]
	v_add_f64_e32 v[14:15], v[30:31], v[14:15]
	v_fma_f64 v[30:31], v[214:215], s[18:19], -v[38:39]
	s_delay_alu instid0(VALU_DEP_1) | instskip(SKIP_1) | instid1(VALU_DEP_2)
	v_add_f64_e32 v[28:29], v[30:31], v[28:29]
	v_fma_f64 v[30:31], v[220:221], s[10:11], v[40:41]
	v_add_f64_e32 v[114:115], v[32:33], v[28:29]
	s_delay_alu instid0(VALU_DEP_2) | instskip(SKIP_4) | instid1(VALU_DEP_1)
	v_add_f64_e32 v[112:113], v[30:31], v[14:15]
	v_fma_f64 v[14:15], v[169:170], s[18:19], v[254:255]
	scratch_load_b32 v254, off, off offset:8 ; 4-byte Folded Reload
	v_add_f64_e32 v[0:1], v[14:15], v[0:1]
	v_fma_f64 v[14:15], v[175:176], s[18:19], -v[16:17]
	v_add_f64_e32 v[12:13], v[14:15], v[12:13]
	v_fma_f64 v[14:15], v[179:180], s[16:17], v[18:19]
	s_delay_alu instid0(VALU_DEP_1) | instskip(SKIP_1) | instid1(VALU_DEP_1)
	v_add_f64_e32 v[0:1], v[14:15], v[0:1]
	v_fma_f64 v[14:15], v[202:203], s[16:17], -v[20:21]
	v_add_f64_e32 v[12:13], v[14:15], v[12:13]
	v_fma_f64 v[14:15], v[208:209], s[6:7], v[22:23]
	s_delay_alu instid0(VALU_DEP_1) | instskip(SKIP_1) | instid1(VALU_DEP_1)
	v_add_f64_e32 v[0:1], v[14:15], v[0:1]
	v_fma_f64 v[14:15], v[214:215], s[6:7], -v[24:25]
	v_add_f64_e32 v[12:13], v[14:15], v[12:13]
	v_fma_f64 v[14:15], v[220:221], s[14:15], v[26:27]
	s_delay_alu instid0(VALU_DEP_2) | instskip(NEXT) | instid1(VALU_DEP_2)
	v_add_f64_e32 v[110:111], v[10:11], v[12:13]
	v_add_f64_e32 v[108:109], v[14:15], v[0:1]
	v_fma_f64 v[0:1], v[161:162], s[6:7], v[246:247]
	v_fma_f64 v[10:11], v[165:166], s[6:7], -v[192:193]
	v_fma_f64 v[12:13], v[169:170], s[10:11], v[194:195]
	s_delay_alu instid0(VALU_DEP_3) | instskip(NEXT) | instid1(VALU_DEP_3)
	v_add_f64_e32 v[0:1], v[0:1], v[106:107]
	v_add_f64_e32 v[10:11], v[10:11], v[104:105]
	s_delay_alu instid0(VALU_DEP_2) | instskip(SKIP_1) | instid1(VALU_DEP_1)
	v_add_f64_e32 v[0:1], v[12:13], v[0:1]
	v_fma_f64 v[12:13], v[175:176], s[10:11], -v[248:249]
	v_add_f64_e32 v[10:11], v[12:13], v[10:11]
	v_fma_f64 v[12:13], v[179:180], s[18:19], v[250:251]
	s_delay_alu instid0(VALU_DEP_1) | instskip(SKIP_1) | instid1(VALU_DEP_2)
	v_add_f64_e32 v[0:1], v[12:13], v[0:1]
	v_fma_f64 v[12:13], v[202:203], s[18:19], -v[252:253]
	v_add_f64_e32 v[0:1], v[2:3], v[0:1]
	s_delay_alu instid0(VALU_DEP_2)
	v_add_f64_e32 v[10:11], v[12:13], v[10:11]
	v_fma_f64 v[2:3], v[214:215], s[14:15], -v[4:5]
	v_fma_f64 v[4:5], v[220:221], s[8:9], v[6:7]
	v_fma_f64 v[6:7], v[226:227], s[8:9], -v[8:9]
	scratch_load_b64 v[8:9], off, off offset:212 th:TH_LOAD_LU ; 8-byte Folded Reload
	v_add_f64_e32 v[2:3], v[2:3], v[10:11]
	v_add_f64_e32 v[104:105], v[4:5], v[0:1]
	v_fma_f64 v[0:1], v[161:162], s[10:11], v[230:231]
	v_fma_f64 v[4:5], v[169:170], s[6:7], v[190:191]
	;; [unrolled: 1-line block ×3, first 2 shown]
	v_add_f64_e32 v[106:107], v[6:7], v[2:3]
	v_fma_f64 v[2:3], v[165:166], s[10:11], -v[188:189]
	v_add_f64_e32 v[0:1], v[0:1], v[102:103]
	v_fma_f64 v[6:7], v[226:227], s[18:19], -v[244:245]
	s_delay_alu instid0(VALU_DEP_3) | instskip(NEXT) | instid1(VALU_DEP_3)
	v_add_f64_e32 v[2:3], v[2:3], v[100:101]
	v_add_f64_e32 v[0:1], v[4:5], v[0:1]
	v_fma_f64 v[4:5], v[175:176], s[6:7], -v[232:233]
	s_delay_alu instid0(VALU_DEP_1) | instskip(SKIP_1) | instid1(VALU_DEP_1)
	v_add_f64_e32 v[2:3], v[4:5], v[2:3]
	v_fma_f64 v[4:5], v[179:180], s[8:9], v[234:235]
	v_add_f64_e32 v[0:1], v[4:5], v[0:1]
	v_fma_f64 v[4:5], v[202:203], s[8:9], -v[236:237]
	s_delay_alu instid0(VALU_DEP_1) | instskip(SKIP_1) | instid1(VALU_DEP_1)
	v_add_f64_e32 v[2:3], v[4:5], v[2:3]
	v_fma_f64 v[4:5], v[208:209], s[16:17], v[238:239]
	v_add_f64_e32 v[0:1], v[4:5], v[0:1]
	v_fma_f64 v[4:5], v[214:215], s[16:17], -v[240:241]
	s_delay_alu instid0(VALU_DEP_1) | instskip(SKIP_1) | instid1(VALU_DEP_2)
	v_add_f64_e32 v[2:3], v[4:5], v[2:3]
	v_fma_f64 v[4:5], v[220:221], s[18:19], v[242:243]
	v_add_f64_e32 v[102:103], v[6:7], v[2:3]
	s_delay_alu instid0(VALU_DEP_2)
	v_add_f64_e32 v[100:101], v[4:5], v[0:1]
	v_fma_f64 v[0:1], v[161:162], s[14:15], -v[163:164]
	v_fma_f64 v[4:5], v[169:170], s[16:17], -v[171:172]
	v_fma_f64 v[2:3], v[165:166], s[14:15], v[167:168]
	v_fma_f64 v[6:7], v[175:176], s[16:17], v[177:178]
	s_wait_loadcnt 0x0
	s_delay_alu instid0(VALU_DEP_4) | instskip(SKIP_1) | instid1(VALU_DEP_4)
	v_add_f64_e32 v[0:1], v[0:1], v[8:9]
	v_fma_f64 v[8:9], v[179:180], s[10:11], -v[181:182]
	v_add_f64_e32 v[2:3], v[2:3], v[86:87]
	s_delay_alu instid0(VALU_DEP_3) | instskip(SKIP_1) | instid1(VALU_DEP_3)
	v_add_f64_e32 v[0:1], v[4:5], v[0:1]
	v_fma_f64 v[4:5], v[208:209], s[8:9], -v[210:211]
	v_add_f64_e32 v[2:3], v[6:7], v[2:3]
	v_fma_f64 v[6:7], v[214:215], s[8:9], v[216:217]
	s_delay_alu instid0(VALU_DEP_4) | instskip(SKIP_1) | instid1(VALU_DEP_4)
	v_add_f64_e32 v[0:1], v[8:9], v[0:1]
	v_fma_f64 v[8:9], v[220:221], s[6:7], -v[222:223]
	v_add_f64_e32 v[2:3], v[10:11], v[2:3]
	v_fma_f64 v[10:11], v[226:227], s[6:7], v[228:229]
	s_delay_alu instid0(VALU_DEP_4) | instskip(NEXT) | instid1(VALU_DEP_3)
	v_add_f64_e32 v[0:1], v[4:5], v[0:1]
	v_add_f64_e32 v[2:3], v[6:7], v[2:3]
	s_delay_alu instid0(VALU_DEP_2) | instskip(SKIP_1) | instid1(VALU_DEP_3)
	v_add_f64_e32 v[84:85], v[8:9], v[0:1]
	v_add_f64_e32 v[0:1], v[48:49], v[120:121]
	;; [unrolled: 1-line block ×4, first 2 shown]
	s_delay_alu instid0(VALU_DEP_3) | instskip(NEXT) | instid1(VALU_DEP_2)
	v_add_f64_e32 v[0:1], v[0:1], v[129:130]
	v_add_f64_e32 v[2:3], v[2:3], v[131:132]
	s_delay_alu instid0(VALU_DEP_2) | instskip(NEXT) | instid1(VALU_DEP_2)
	v_add_f64_e32 v[0:1], v[0:1], v[139:140]
	v_add_f64_e32 v[2:3], v[2:3], v[137:138]
	s_delay_alu instid0(VALU_DEP_2) | instskip(NEXT) | instid1(VALU_DEP_2)
	;; [unrolled: 3-line block ×8, first 2 shown]
	v_add_f64_e32 v[0:1], v[0:1], v[118:119]
	v_add_f64_e32 v[2:3], v[2:3], v[116:117]
	s_delay_alu instid0(VALU_DEP_2)
	v_add_f64_e32 v[68:69], v[0:1], v[68:69]
	scratch_load_b32 v0, off, off offset:16 ; 4-byte Folded Reload
	v_add_f64_e32 v[70:71], v[2:3], v[70:71]
	s_wait_loadcnt 0x0
	v_lshl_add_u32 v129, v254, 4, v0
	ds_store_b128 v129, v[64:67] offset:544
	ds_store_b128 v129, v[72:75] offset:816
	;; [unrolled: 1-line block ×12, first 2 shown]
	ds_store_b128 v129, v[68:71]
	global_wb scope:SCOPE_SE
	s_wait_storecnt_dscnt 0x0
	s_barrier_signal -1
	s_barrier_wait -1
	global_inv scope:SCOPE_SE
	s_and_saveexec_b32 s8, vcc_lo
	s_cbranch_execz .LBB0_9
; %bb.8:
	v_lshlrev_b32_e32 v8, 4, v254
	s_add_nc_u64 s[6:7], s[4:5], 0xdd0
	s_clause 0x4
	global_load_b128 v[116:119], v8, s[4:5] offset:3536
	global_load_b128 v[120:123], v8, s[6:7] offset:208
	;; [unrolled: 1-line block ×5, first 2 shown]
	ds_load_b128 v[138:141], v129
	ds_load_b128 v[142:145], v129 offset:208
	ds_load_b128 v[146:149], v129 offset:416
	global_load_b128 v[150:153], v8, s[6:7] offset:1040
	s_wait_loadcnt_dscnt 0x401
	v_mul_f64_e32 v[4:5], v[144:145], v[122:123]
	v_mul_f64_e32 v[6:7], v[142:143], v[122:123]
	;; [unrolled: 1-line block ×4, first 2 shown]
	s_delay_alu instid0(VALU_DEP_4) | instskip(NEXT) | instid1(VALU_DEP_4)
	v_fma_f64 v[142:143], v[142:143], v[120:121], -v[4:5]
	v_fma_f64 v[144:145], v[144:145], v[120:121], v[6:7]
	s_delay_alu instid0(VALU_DEP_4) | instskip(NEXT) | instid1(VALU_DEP_4)
	v_fma_f64 v[138:139], v[138:139], v[116:117], -v[0:1]
	v_fma_f64 v[140:141], v[140:141], v[116:117], v[2:3]
	ds_load_b128 v[116:119], v129 offset:624
	s_wait_loadcnt_dscnt 0x301
	v_mul_f64_e32 v[0:1], v[148:149], v[126:127]
	v_mul_f64_e32 v[2:3], v[146:147], v[126:127]
	s_wait_loadcnt_dscnt 0x200
	v_mul_f64_e32 v[4:5], v[118:119], v[132:133]
	v_mul_f64_e32 v[6:7], v[116:117], v[132:133]
	s_delay_alu instid0(VALU_DEP_4) | instskip(NEXT) | instid1(VALU_DEP_4)
	v_fma_f64 v[120:121], v[146:147], v[124:125], -v[0:1]
	v_fma_f64 v[122:123], v[148:149], v[124:125], v[2:3]
	ds_load_b128 v[124:127], v129 offset:832
	ds_load_b128 v[146:149], v129 offset:1040
	v_fma_f64 v[116:117], v[116:117], v[130:131], -v[4:5]
	v_fma_f64 v[118:119], v[118:119], v[130:131], v[6:7]
	s_wait_loadcnt_dscnt 0x101
	v_mul_f64_e32 v[0:1], v[126:127], v[136:137]
	global_load_b128 v[130:133], v8, s[6:7] offset:1248
	v_mul_f64_e32 v[2:3], v[124:125], v[136:137]
	v_fma_f64 v[124:125], v[124:125], v[134:135], -v[0:1]
	s_wait_loadcnt_dscnt 0x100
	v_mul_f64_e32 v[0:1], v[148:149], v[152:153]
	s_delay_alu instid0(VALU_DEP_3) | instskip(SKIP_3) | instid1(VALU_DEP_2)
	v_fma_f64 v[126:127], v[126:127], v[134:135], v[2:3]
	global_load_b128 v[134:137], v8, s[6:7] offset:1456
	v_mul_f64_e32 v[2:3], v[146:147], v[152:153]
	v_fma_f64 v[146:147], v[146:147], v[150:151], -v[0:1]
	v_fma_f64 v[148:149], v[148:149], v[150:151], v[2:3]
	ds_load_b128 v[150:153], v129 offset:1248
	ds_load_b128 v[154:157], v129 offset:1456
	s_wait_loadcnt_dscnt 0x101
	v_mul_f64_e32 v[0:1], v[152:153], v[132:133]
	v_mul_f64_e32 v[2:3], v[150:151], v[132:133]
	s_delay_alu instid0(VALU_DEP_2) | instskip(NEXT) | instid1(VALU_DEP_2)
	v_fma_f64 v[150:151], v[150:151], v[130:131], -v[0:1]
	v_fma_f64 v[152:153], v[152:153], v[130:131], v[2:3]
	s_wait_loadcnt_dscnt 0x0
	v_mul_f64_e32 v[0:1], v[156:157], v[136:137]
	v_mul_f64_e32 v[2:3], v[154:155], v[136:137]
	s_delay_alu instid0(VALU_DEP_2) | instskip(NEXT) | instid1(VALU_DEP_2)
	v_fma_f64 v[130:131], v[154:155], v[134:135], -v[0:1]
	v_fma_f64 v[132:133], v[156:157], v[134:135], v[2:3]
	s_clause 0x1
	global_load_b128 v[134:137], v8, s[6:7] offset:1664
	global_load_b128 v[154:157], v8, s[6:7] offset:1872
	ds_load_b128 v[158:161], v129 offset:1664
	ds_load_b128 v[162:165], v129 offset:1872
	s_wait_loadcnt_dscnt 0x101
	v_mul_f64_e32 v[0:1], v[160:161], v[136:137]
	v_mul_f64_e32 v[2:3], v[158:159], v[136:137]
	s_delay_alu instid0(VALU_DEP_2) | instskip(NEXT) | instid1(VALU_DEP_2)
	v_fma_f64 v[158:159], v[158:159], v[134:135], -v[0:1]
	v_fma_f64 v[160:161], v[160:161], v[134:135], v[2:3]
	s_wait_loadcnt_dscnt 0x0
	v_mul_f64_e32 v[0:1], v[164:165], v[156:157]
	v_mul_f64_e32 v[2:3], v[162:163], v[156:157]
	s_delay_alu instid0(VALU_DEP_2) | instskip(NEXT) | instid1(VALU_DEP_2)
	v_fma_f64 v[134:135], v[162:163], v[154:155], -v[0:1]
	v_fma_f64 v[136:137], v[164:165], v[154:155], v[2:3]
	s_clause 0x1
	global_load_b128 v[154:157], v8, s[6:7] offset:2080
	global_load_b128 v[162:165], v8, s[6:7] offset:2288
	;; [unrolled: 17-line block ×4, first 2 shown]
	ds_load_b128 v[182:185], v129 offset:2912
	ds_load_b128 v[188:191], v129 offset:3120
	s_wait_loadcnt_dscnt 0x101
	v_mul_f64_e32 v[0:1], v[184:185], v[172:173]
	v_mul_f64_e32 v[2:3], v[182:183], v[172:173]
	s_delay_alu instid0(VALU_DEP_2) | instskip(NEXT) | instid1(VALU_DEP_2)
	v_fma_f64 v[182:183], v[182:183], v[170:171], -v[0:1]
	v_fma_f64 v[184:185], v[184:185], v[170:171], v[2:3]
	s_wait_loadcnt_dscnt 0x0
	v_mul_f64_e32 v[0:1], v[190:191], v[180:181]
	v_mul_f64_e32 v[2:3], v[188:189], v[180:181]
	s_delay_alu instid0(VALU_DEP_2) | instskip(NEXT) | instid1(VALU_DEP_2)
	v_fma_f64 v[170:171], v[188:189], v[178:179], -v[0:1]
	v_fma_f64 v[172:173], v[190:191], v[178:179], v[2:3]
	global_load_b128 v[178:181], v8, s[6:7] offset:3328
	ds_load_b128 v[188:191], v129 offset:3328
	s_wait_loadcnt_dscnt 0x0
	v_mul_f64_e32 v[0:1], v[190:191], v[180:181]
	v_mul_f64_e32 v[2:3], v[188:189], v[180:181]
	s_delay_alu instid0(VALU_DEP_2) | instskip(NEXT) | instid1(VALU_DEP_2)
	v_fma_f64 v[188:189], v[188:189], v[178:179], -v[0:1]
	v_fma_f64 v[190:191], v[190:191], v[178:179], v[2:3]
	ds_store_b128 v129, v[138:141]
	ds_store_b128 v129, v[142:145] offset:208
	ds_store_b128 v129, v[120:123] offset:416
	;; [unrolled: 1-line block ×16, first 2 shown]
.LBB0_9:
	s_wait_alu 0xfffe
	s_or_b32 exec_lo, exec_lo, s8
	global_wb scope:SCOPE_SE
	s_wait_dscnt 0x0
	s_barrier_signal -1
	s_barrier_wait -1
	global_inv scope:SCOPE_SE
	s_and_saveexec_b32 s6, vcc_lo
	s_cbranch_execz .LBB0_11
; %bb.10:
	ds_load_b128 v[68:71], v129
	ds_load_b128 v[84:87], v129 offset:208
	ds_load_b128 v[64:67], v129 offset:416
	;; [unrolled: 1-line block ×13, first 2 shown]
	s_wait_dscnt 0x0
	scratch_store_b128 off, v[0:3], off offset:68 ; 16-byte Folded Spill
	ds_load_b128 v[0:3], v129 offset:2912
	s_wait_dscnt 0x0
	scratch_store_b128 off, v[0:3], off offset:52 ; 16-byte Folded Spill
	ds_load_b128 v[0:3], v129 offset:3120
	;; [unrolled: 3-line block ×3, first 2 shown]
	s_wait_dscnt 0x0
	scratch_store_b128 off, v[0:3], off offset:20 ; 16-byte Folded Spill
.LBB0_11:
	s_wait_alu 0xfffe
	s_or_b32 exec_lo, exec_lo, s6
	global_wb scope:SCOPE_SE
	s_wait_storecnt 0x0
	s_barrier_signal -1
	s_barrier_wait -1
	global_inv scope:SCOPE_SE
	s_and_saveexec_b32 s33, vcc_lo
	s_cbranch_execz .LBB0_13
; %bb.12:
	v_add_f64_e32 v[0:1], v[70:71], v[86:87]
	v_add_f64_e32 v[2:3], v[68:69], v[84:85]
	scratch_load_b128 v[4:7], off, off offset:68 th:TH_LOAD_LU ; 16-byte Folded Reload
	v_add_f64_e64 v[118:119], v[112:113], -v[108:109]
	v_add_f64_e32 v[116:117], v[114:115], v[110:111]
	v_add_f64_e64 v[120:121], v[98:99], -v[106:107]
	s_mov_b32 s24, 0x6c9a05f6
	s_mov_b32 s25, 0xbfe9895b
	s_mov_b32 s26, 0xeb564b22
	s_mov_b32 s10, 0x6ed5f1bb
	s_mov_b32 s27, 0x3fefdd0d
	s_mov_b32 s43, 0xbfefdd0d
	s_wait_alu 0xfffe
	s_mov_b32 s42, s26
	s_mov_b32 s11, 0xbfe348c8
	;; [unrolled: 1-line block ×7, first 2 shown]
	s_wait_alu 0xfffe
	s_mov_b32 s36, s44
	s_mov_b32 s18, 0x2b2883cd
	;; [unrolled: 1-line block ×6, first 2 shown]
	s_wait_alu 0xfffe
	s_mov_b32 s48, s34
	s_mov_b32 s20, 0x75d4884
	;; [unrolled: 1-line block ×12, first 2 shown]
	s_wait_alu 0xfffe
	s_mov_b32 s28, s40
	v_add_f64_e32 v[0:1], v[0:1], v[66:67]
	v_add_f64_e32 v[2:3], v[2:3], v[64:65]
	s_mov_b32 s14, 0xc61f0d01
	s_mov_b32 s8, 0x910ea3b9
	;; [unrolled: 1-line block ×8, first 2 shown]
	v_mul_f64_e32 v[172:173], s[26:27], v[118:119]
	s_mov_b32 s51, 0x3fe9895b
	s_mov_b32 s50, s24
	;; [unrolled: 1-line block ×4, first 2 shown]
	v_mul_f64_e32 v[208:209], s[38:39], v[120:121]
	v_mul_f64_e32 v[234:235], s[44:45], v[120:121]
	;; [unrolled: 1-line block ×7, first 2 shown]
	scratch_load_b128 v[14:17], off, off offset:20 th:TH_LOAD_LU ; 16-byte Folded Reload
	v_add_f64_e32 v[0:1], v[0:1], v[74:75]
	v_add_f64_e32 v[2:3], v[2:3], v[72:73]
	s_wait_alu 0xfffe
	v_fma_f64 v[50:51], v[116:117], s[8:9], -v[48:49]
	s_delay_alu instid0(VALU_DEP_3) | instskip(NEXT) | instid1(VALU_DEP_3)
	v_add_f64_e32 v[0:1], v[0:1], v[82:83]
	v_add_f64_e32 v[2:3], v[2:3], v[80:81]
	s_delay_alu instid0(VALU_DEP_2) | instskip(NEXT) | instid1(VALU_DEP_2)
	v_add_f64_e32 v[0:1], v[0:1], v[90:91]
	v_add_f64_e32 v[2:3], v[2:3], v[88:89]
	s_delay_alu instid0(VALU_DEP_2) | instskip(NEXT) | instid1(VALU_DEP_2)
	;; [unrolled: 3-line block ×4, first 2 shown]
	v_add_f64_e32 v[0:1], v[0:1], v[114:115]
	v_add_f64_e32 v[2:3], v[2:3], v[112:113]
	;; [unrolled: 1-line block ×3, first 2 shown]
	v_add_f64_e64 v[114:115], v[114:115], -v[110:111]
	s_delay_alu instid0(VALU_DEP_4) | instskip(NEXT) | instid1(VALU_DEP_4)
	v_add_f64_e32 v[0:1], v[0:1], v[110:111]
	v_add_f64_e32 v[2:3], v[2:3], v[108:109]
	v_add_f64_e64 v[110:111], v[96:97], -v[104:105]
	v_add_f64_e32 v[108:109], v[98:99], v[106:107]
	v_add_f64_e32 v[96:97], v[96:97], v[104:105]
	;; [unrolled: 1-line block ×3, first 2 shown]
	v_mul_f64_e32 v[174:175], s[26:27], v[114:115]
	v_add_f64_e32 v[0:1], v[0:1], v[106:107]
	v_add_f64_e32 v[2:3], v[2:3], v[104:105]
	v_add_f64_e64 v[104:105], v[92:93], -v[100:101]
	v_add_f64_e32 v[92:93], v[92:93], v[100:101]
	v_add_f64_e64 v[106:107], v[94:95], -v[102:103]
	;; [unrolled: 2-line block ×3, first 2 shown]
	v_mul_f64_e32 v[206:207], s[38:39], v[110:111]
	v_mul_f64_e32 v[232:233], s[44:45], v[110:111]
	;; [unrolled: 1-line block ×3, first 2 shown]
	v_add_f64_e32 v[0:1], v[0:1], v[102:103]
	v_add_f64_e32 v[2:3], v[2:3], v[100:101]
	v_add_f64_e64 v[100:101], v[88:89], -v[76:77]
	v_add_f64_e32 v[88:89], v[88:89], v[76:77]
	s_wait_loadcnt 0x1
	v_add_f64_e64 v[102:103], v[80:81], -v[4:5]
	v_mul_f64_e32 v[202:203], s[24:25], v[104:105]
	v_mul_f64_e32 v[200:201], s[46:47], v[90:91]
	;; [unrolled: 1-line block ×10, first 2 shown]
	s_wait_loadcnt 0x0
	v_add_f64_e64 v[8:9], v[86:87], -v[16:17]
	v_add_f64_e32 v[12:13], v[84:85], v[14:15]
	v_add_f64_e32 v[10:11], v[86:87], v[16:17]
	;; [unrolled: 1-line block ×6, first 2 shown]
	v_add_f64_e64 v[82:83], v[82:83], -v[6:7]
	v_mul_f64_e32 v[194:195], s[42:43], v[102:103]
	v_mul_f64_e32 v[198:199], s[46:47], v[100:101]
	;; [unrolled: 1-line block ×10, first 2 shown]
	v_add_f64_e32 v[0:1], v[0:1], v[6:7]
	v_add_f64_e32 v[2:3], v[2:3], v[4:5]
	scratch_load_b128 v[4:7], off, off offset:52 th:TH_LOAD_LU ; 16-byte Folded Reload
	v_mul_f64_e32 v[196:197], s[42:43], v[82:83]
	v_mul_f64_e32 v[222:223], s[30:31], v[82:83]
	;; [unrolled: 1-line block ×3, first 2 shown]
	v_fma_f64 v[144:145], v[12:13], s[16:17], -v[130:131]
	v_fma_f64 v[146:147], v[12:13], s[18:19], v[132:133]
	v_fma_f64 v[132:133], v[12:13], s[18:19], -v[132:133]
	v_fma_f64 v[148:149], v[12:13], s[20:21], v[134:135]
	v_fma_f64 v[134:135], v[12:13], s[20:21], -v[134:135]
	v_fma_f64 v[138:139], v[12:13], s[8:9], -v[42:43]
	v_fma_f64 v[42:43], v[12:13], s[8:9], v[42:43]
	v_fma_f64 v[142:143], v[12:13], s[14:15], -v[86:87]
	v_fma_f64 v[86:87], v[12:13], s[14:15], v[86:87]
	v_fma_f64 v[130:131], v[12:13], s[16:17], v[130:131]
	v_add_f64_e32 v[146:147], v[68:69], v[146:147]
	v_add_f64_e32 v[138:139], v[68:69], v[138:139]
	;; [unrolled: 1-line block ×6, first 2 shown]
	s_wait_loadcnt 0x0
	v_add_f64_e64 v[122:123], v[72:73], -v[4:5]
	v_add_f64_e32 v[80:81], v[74:75], v[6:7]
	v_add_f64_e32 v[72:73], v[72:73], v[4:5]
	v_add_f64_e64 v[74:75], v[74:75], -v[6:7]
	v_add_f64_e32 v[0:1], v[0:1], v[6:7]
	v_add_f64_e32 v[2:3], v[2:3], v[4:5]
	scratch_load_b128 v[4:7], off, off offset:36 th:TH_LOAD_LU ; 16-byte Folded Reload
	v_mul_f64_e32 v[190:191], s[36:37], v[122:123]
	v_mul_f64_e32 v[216:217], s[24:25], v[122:123]
	;; [unrolled: 1-line block ×4, first 2 shown]
	s_wait_loadcnt 0x0
	v_add_f64_e64 v[126:127], v[64:65], -v[4:5]
	v_add_f64_e64 v[124:125], v[66:67], -v[6:7]
	v_add_f64_e32 v[66:67], v[66:67], v[6:7]
	v_add_f64_e32 v[64:65], v[64:65], v[4:5]
	;; [unrolled: 1-line block ×4, first 2 shown]
	v_add_f64_e64 v[6:7], v[84:85], -v[14:15]
	v_mul_f64_e32 v[84:85], s[24:25], v[8:9]
	v_mul_f64_e32 v[212:213], s[42:43], v[126:127]
	v_mul_f64_e32 v[188:189], s[48:49], v[124:125]
	v_mul_f64_e32 v[214:215], s[42:43], v[124:125]
	v_mul_f64_e32 v[238:239], s[24:25], v[126:127]
	v_add_f64_e32 v[2:3], v[0:1], v[16:17]
	v_add_f64_e32 v[0:1], v[4:5], v[14:15]
	v_mul_f64_e32 v[20:21], s[42:43], v[6:7]
	v_fma_f64 v[140:141], v[12:13], s[10:11], -v[84:85]
	v_fma_f64 v[84:85], v[12:13], s[10:11], v[84:85]
	v_mul_f64_e32 v[22:23], s[36:37], v[6:7]
	v_mul_f64_e32 v[24:25], s[48:49], v[6:7]
	v_mul_f64_e32 v[4:5], s[30:31], v[6:7]
	v_mul_f64_e32 v[14:15], s[38:39], v[6:7]
	v_mul_f64_e32 v[16:17], s[24:25], v[6:7]
	v_mul_f64_e32 v[18:19], s[46:47], v[6:7]
	v_mul_f64_e32 v[6:7], s[28:29], v[6:7]
	v_mul_f64_e32 v[240:241], s[24:25], v[124:125]
	scratch_store_b128 off, v[0:3], off offset:20 ; 16-byte Folded Spill
	v_fma_f64 v[34:35], v[10:11], s[16:17], v[20:21]
	v_fma_f64 v[20:21], v[10:11], s[16:17], -v[20:21]
	v_add_f64_e32 v[0:1], v[68:69], v[84:85]
	v_fma_f64 v[36:37], v[10:11], s[18:19], -v[22:23]
	v_fma_f64 v[22:23], v[10:11], s[18:19], v[22:23]
	v_fma_f64 v[38:39], v[10:11], s[20:21], -v[24:25]
	v_fma_f64 v[24:25], v[10:11], s[20:21], v[24:25]
	v_fma_f64 v[26:27], v[10:11], s[6:7], v[4:5]
	v_fma_f64 v[4:5], v[10:11], s[6:7], -v[4:5]
	v_fma_f64 v[28:29], v[10:11], s[8:9], v[14:15]
	v_fma_f64 v[14:15], v[10:11], s[8:9], -v[14:15]
	;; [unrolled: 2-line block ×4, first 2 shown]
	v_fma_f64 v[40:41], v[10:11], s[22:23], -v[6:7]
	v_fma_f64 v[6:7], v[10:11], s[22:23], v[6:7]
	v_mul_f64_e32 v[10:11], s[30:31], v[8:9]
	v_mul_f64_e32 v[8:9], s[28:29], v[8:9]
	v_add_f64_e32 v[140:141], v[68:69], v[140:141]
	v_add_f64_e32 v[20:21], v[70:71], v[20:21]
	scratch_store_b64 off, v[0:1], off offset:272 ; 8-byte Folded Spill
	v_add_f64_e32 v[0:1], v[70:71], v[34:35]
	v_mul_f64_e32 v[34:35], s[30:31], v[114:115]
	v_add_f64_e32 v[38:39], v[70:71], v[38:39]
	v_add_f64_e32 v[36:37], v[70:71], v[36:37]
	;; [unrolled: 1-line block ×4, first 2 shown]
	v_mul_f64_e32 v[14:15], s[38:39], v[122:123]
	v_add_f64_e32 v[30:31], v[70:71], v[30:31]
	v_add_f64_e32 v[154:155], v[70:71], v[16:17]
	;; [unrolled: 1-line block ×5, first 2 shown]
	v_fma_f64 v[136:137], v[12:13], s[6:7], -v[10:11]
	v_fma_f64 v[150:151], v[12:13], s[22:23], v[8:9]
	v_fma_f64 v[8:9], v[12:13], s[22:23], -v[8:9]
	v_fma_f64 v[10:11], v[12:13], s[6:7], v[10:11]
	v_add_f64_e32 v[12:13], v[70:71], v[26:27]
	v_dual_mov_b32 v16, v56 :: v_dual_mov_b32 v17, v57
	v_dual_mov_b32 v18, v58 :: v_dual_mov_b32 v19, v59
	v_mul_f64_e32 v[56:57], s[52:53], v[74:75]
	scratch_store_b64 off, v[0:1], off offset:264 ; 8-byte Folded Spill
	v_add_f64_e32 v[0:1], v[68:69], v[144:145]
	v_add_f64_e32 v[144:145], v[68:69], v[148:149]
	;; [unrolled: 1-line block ×6, first 2 shown]
	v_fma_f64 v[58:59], v[72:73], s[14:15], v[56:57]
	scratch_store_b64 off, v[0:1], off offset:256 ; 8-byte Folded Spill
	v_add_f64_e32 v[0:1], v[70:71], v[22:23]
	v_mul_f64_e32 v[22:23], s[28:29], v[106:107]
	scratch_store_b64 off, v[0:1], off offset:248 ; 8-byte Folded Spill
	v_add_f64_e32 v[0:1], v[68:69], v[132:133]
	scratch_store_b64 off, v[0:1], off offset:240 ; 8-byte Folded Spill
	v_add_f64_e32 v[0:1], v[70:71], v[24:25]
	v_fma_f64 v[24:25], v[80:81], s[8:9], v[14:15]
	scratch_store_b64 off, v[0:1], off offset:232 ; 8-byte Folded Spill
	v_add_f64_e32 v[0:1], v[68:69], v[134:135]
	scratch_store_b64 off, v[0:1], off offset:224 ; 8-byte Folded Spill
	v_add_f64_e32 v[0:1], v[70:71], v[6:7]
	v_mul_f64_e32 v[70:71], s[40:41], v[114:115]
	scratch_store_b64 off, v[0:1], off offset:212 ; 8-byte Folded Spill
	v_add_f64_e32 v[0:1], v[68:69], v[8:9]
	v_mul_f64_e32 v[8:9], s[40:41], v[126:127]
	v_mul_f64_e32 v[68:69], s[48:49], v[126:127]
	scratch_store_b64 off, v[0:1], off offset:68 ; 8-byte Folded Spill
	v_fma_f64 v[4:5], v[66:67], s[22:23], v[8:9]
	v_fma_f64 v[8:9], v[66:67], s[22:23], -v[8:9]
	s_delay_alu instid0(VALU_DEP_2) | instskip(SKIP_1) | instid1(VALU_DEP_3)
	v_add_f64_e32 v[4:5], v[4:5], v[12:13]
	v_mul_f64_e32 v[12:13], s[40:41], v[124:125]
	v_add_f64_e32 v[8:9], v[8:9], v[136:137]
	s_delay_alu instid0(VALU_DEP_3) | instskip(NEXT) | instid1(VALU_DEP_3)
	v_add_f64_e32 v[4:5], v[24:25], v[4:5]
	v_fma_f64 v[6:7], v[64:65], s[22:23], -v[12:13]
	v_mul_f64_e32 v[24:25], s[38:39], v[74:75]
	v_fma_f64 v[12:13], v[64:65], s[22:23], v[12:13]
	s_delay_alu instid0(VALU_DEP_3) | instskip(NEXT) | instid1(VALU_DEP_3)
	v_add_f64_e32 v[6:7], v[6:7], v[26:27]
	v_fma_f64 v[26:27], v[72:73], s[8:9], -v[24:25]
	s_delay_alu instid0(VALU_DEP_3) | instskip(SKIP_2) | instid1(VALU_DEP_4)
	v_add_f64_e32 v[10:11], v[12:13], v[10:11]
	v_fma_f64 v[12:13], v[80:81], s[8:9], -v[14:15]
	v_fma_f64 v[14:15], v[112:113], s[16:17], v[174:175]
	v_add_f64_e32 v[6:7], v[26:27], v[6:7]
	v_mul_f64_e32 v[26:27], s[34:35], v[102:103]
	s_delay_alu instid0(VALU_DEP_4) | instskip(SKIP_2) | instid1(VALU_DEP_4)
	v_add_f64_e32 v[8:9], v[12:13], v[8:9]
	v_fma_f64 v[12:13], v[72:73], s[8:9], v[24:25]
	v_mul_f64_e32 v[24:25], s[44:45], v[126:127]
	v_fma_f64 v[130:131], v[78:79], s[20:21], v[26:27]
	s_delay_alu instid0(VALU_DEP_3) | instskip(SKIP_2) | instid1(VALU_DEP_4)
	v_add_f64_e32 v[10:11], v[12:13], v[10:11]
	v_fma_f64 v[12:13], v[78:79], s[20:21], -v[26:27]
	v_mul_f64_e32 v[26:27], s[44:45], v[124:125]
	v_add_f64_e32 v[4:5], v[130:131], v[4:5]
	v_mul_f64_e32 v[130:131], s[34:35], v[82:83]
	s_delay_alu instid0(VALU_DEP_4) | instskip(NEXT) | instid1(VALU_DEP_2)
	v_add_f64_e32 v[8:9], v[12:13], v[8:9]
	v_fma_f64 v[132:133], v[76:77], s[20:21], -v[130:131]
	v_fma_f64 v[12:13], v[76:77], s[20:21], v[130:131]
	s_delay_alu instid0(VALU_DEP_2) | instskip(SKIP_1) | instid1(VALU_DEP_3)
	v_add_f64_e32 v[6:7], v[132:133], v[6:7]
	v_mul_f64_e32 v[132:133], s[24:25], v[100:101]
	v_add_f64_e32 v[10:11], v[12:13], v[10:11]
	s_delay_alu instid0(VALU_DEP_2) | instskip(SKIP_1) | instid1(VALU_DEP_2)
	v_fma_f64 v[134:135], v[94:95], s[10:11], v[132:133]
	v_fma_f64 v[12:13], v[94:95], s[10:11], -v[132:133]
	v_add_f64_e32 v[4:5], v[134:135], v[4:5]
	v_mul_f64_e32 v[134:135], s[24:25], v[90:91]
	s_delay_alu instid0(VALU_DEP_3) | instskip(NEXT) | instid1(VALU_DEP_2)
	v_add_f64_e32 v[8:9], v[12:13], v[8:9]
	v_fma_f64 v[148:149], v[88:89], s[10:11], -v[134:135]
	v_fma_f64 v[12:13], v[88:89], s[10:11], v[134:135]
	s_delay_alu instid0(VALU_DEP_2) | instskip(SKIP_1) | instid1(VALU_DEP_3)
	v_add_f64_e32 v[6:7], v[148:149], v[6:7]
	v_mul_f64_e32 v[148:149], s[44:45], v[104:105]
	v_add_f64_e32 v[10:11], v[12:13], v[10:11]
	s_delay_alu instid0(VALU_DEP_2) | instskip(SKIP_1) | instid1(VALU_DEP_2)
	v_fma_f64 v[150:151], v[98:99], s[18:19], v[148:149]
	v_fma_f64 v[12:13], v[98:99], s[18:19], -v[148:149]
	v_add_f64_e32 v[4:5], v[150:151], v[4:5]
	v_mul_f64_e32 v[150:151], s[44:45], v[106:107]
	s_delay_alu instid0(VALU_DEP_3) | instskip(NEXT) | instid1(VALU_DEP_2)
	;; [unrolled: 13-line block ×3, first 2 shown]
	v_add_f64_e32 v[8:9], v[12:13], v[8:9]
	v_fma_f64 v[170:171], v[96:97], s[14:15], -v[168:169]
	v_fma_f64 v[12:13], v[96:97], s[14:15], v[168:169]
	s_delay_alu instid0(VALU_DEP_2) | instskip(SKIP_1) | instid1(VALU_DEP_3)
	v_add_f64_e32 v[170:171], v[170:171], v[6:7]
	v_fma_f64 v[6:7], v[116:117], s[16:17], v[172:173]
	v_add_f64_e32 v[12:13], v[12:13], v[10:11]
	v_fma_f64 v[10:11], v[116:117], s[16:17], -v[172:173]
	v_mul_f64_e32 v[172:173], s[46:47], v[118:119]
	s_delay_alu instid0(VALU_DEP_4)
	v_add_f64_e32 v[2:3], v[6:7], v[4:5]
	v_fma_f64 v[4:5], v[112:113], s[16:17], -v[174:175]
	v_mul_f64_e32 v[174:175], s[46:47], v[114:115]
	s_mov_b32 s47, 0x3fe0d888
	s_mov_b32 s46, s38
	s_wait_alu 0xfffe
	v_mul_f64_e32 v[224:225], s[46:47], v[100:101]
	v_mul_f64_e32 v[226:227], s[46:47], v[90:91]
	s_delay_alu instid0(VALU_DEP_4)
	v_add_f64_e32 v[0:1], v[4:5], v[170:171]
	v_mul_f64_e32 v[4:5], s[50:51], v[120:121]
	scratch_store_b128 off, v[0:3], off offset:36 ; 16-byte Folded Spill
	v_add_f64_e32 v[0:1], v[14:15], v[12:13]
	v_fma_f64 v[12:13], v[66:67], s[18:19], v[24:25]
	v_fma_f64 v[14:15], v[64:65], s[18:19], -v[26:27]
	v_fma_f64 v[24:25], v[66:67], s[18:19], -v[24:25]
	v_fma_f64 v[26:27], v[64:65], s[18:19], v[26:27]
	v_add_f64_e32 v[2:3], v[10:11], v[8:9]
	v_mul_f64_e32 v[8:9], s[38:39], v[106:107]
	v_fma_f64 v[10:11], v[96:97], s[10:11], v[4:5]
	v_fma_f64 v[4:5], v[96:97], s[10:11], -v[4:5]
	v_add_f64_e32 v[12:13], v[12:13], v[28:29]
	v_mul_f64_e32 v[28:29], s[42:43], v[122:123]
	v_add_f64_e32 v[14:15], v[14:15], v[138:139]
	v_add_f64_e32 v[24:25], v[24:25], v[152:153]
	;; [unrolled: 1-line block ×3, first 2 shown]
	v_fma_f64 v[42:43], v[112:113], s[14:15], v[174:175]
	scratch_store_b128 off, v[0:3], off offset:52 ; 16-byte Folded Spill
	v_mul_f64_e32 v[2:3], s[38:39], v[104:105]
	v_fma_f64 v[6:7], v[92:93], s[8:9], v[8:9]
	v_mul_f64_e32 v[0:1], s[30:31], v[100:101]
	v_fma_f64 v[130:131], v[80:81], s[16:17], v[28:29]
	v_fma_f64 v[28:29], v[80:81], s[16:17], -v[28:29]
	s_delay_alu instid0(VALU_DEP_2) | instskip(SKIP_1) | instid1(VALU_DEP_3)
	v_add_f64_e32 v[12:13], v[130:131], v[12:13]
	v_mul_f64_e32 v[130:131], s[42:43], v[74:75]
	v_add_f64_e32 v[24:25], v[28:29], v[24:25]
	s_delay_alu instid0(VALU_DEP_2) | instskip(SKIP_1) | instid1(VALU_DEP_2)
	v_fma_f64 v[132:133], v[72:73], s[16:17], -v[130:131]
	v_fma_f64 v[28:29], v[72:73], s[16:17], v[130:131]
	v_add_f64_e32 v[14:15], v[132:133], v[14:15]
	v_mul_f64_e32 v[132:133], s[50:51], v[102:103]
	s_delay_alu instid0(VALU_DEP_3) | instskip(NEXT) | instid1(VALU_DEP_2)
	v_add_f64_e32 v[26:27], v[28:29], v[26:27]
	v_fma_f64 v[134:135], v[78:79], s[10:11], v[132:133]
	v_fma_f64 v[28:29], v[78:79], s[10:11], -v[132:133]
	s_delay_alu instid0(VALU_DEP_2) | instskip(SKIP_1) | instid1(VALU_DEP_3)
	v_add_f64_e32 v[12:13], v[134:135], v[12:13]
	v_mul_f64_e32 v[134:135], s[50:51], v[82:83]
	v_add_f64_e32 v[24:25], v[28:29], v[24:25]
	s_delay_alu instid0(VALU_DEP_2) | instskip(SKIP_1) | instid1(VALU_DEP_2)
	v_fma_f64 v[136:137], v[76:77], s[10:11], -v[134:135]
	v_fma_f64 v[28:29], v[76:77], s[10:11], v[134:135]
	v_add_f64_e32 v[14:15], v[136:137], v[14:15]
	v_mul_f64_e32 v[136:137], s[28:29], v[100:101]
	s_delay_alu instid0(VALU_DEP_3) | instskip(NEXT) | instid1(VALU_DEP_2)
	v_add_f64_e32 v[26:27], v[28:29], v[26:27]
	v_fma_f64 v[138:139], v[94:95], s[22:23], v[136:137]
	v_fma_f64 v[28:29], v[94:95], s[22:23], -v[136:137]
	s_delay_alu instid0(VALU_DEP_2) | instskip(SKIP_1) | instid1(VALU_DEP_3)
	v_add_f64_e32 v[12:13], v[138:139], v[12:13]
	v_mul_f64_e32 v[138:139], s[28:29], v[90:91]
	v_add_f64_e32 v[24:25], v[28:29], v[24:25]
	s_delay_alu instid0(VALU_DEP_2) | instskip(SKIP_2) | instid1(VALU_DEP_3)
	v_fma_f64 v[148:149], v[88:89], s[22:23], -v[138:139]
	v_fma_f64 v[28:29], v[88:89], s[22:23], v[138:139]
	v_fma_f64 v[138:139], v[66:67], s[20:21], -v[68:69]
	v_add_f64_e32 v[14:15], v[148:149], v[14:15]
	v_mul_f64_e32 v[148:149], s[30:31], v[104:105]
	s_delay_alu instid0(VALU_DEP_4) | instskip(NEXT) | instid1(VALU_DEP_4)
	v_add_f64_e32 v[26:27], v[28:29], v[26:27]
	v_add_f64_e32 v[40:41], v[138:139], v[40:41]
	v_fma_f64 v[138:139], v[64:65], s[20:21], v[188:189]
	v_mul_f64_e32 v[104:105], s[26:27], v[104:105]
	v_fma_f64 v[150:151], v[98:99], s[6:7], v[148:149]
	v_fma_f64 v[28:29], v[98:99], s[6:7], -v[148:149]
	v_fma_f64 v[148:149], v[112:113], s[22:23], v[70:71]
	v_add_f64_e32 v[138:139], v[138:139], v[142:143]
	v_fma_f64 v[142:143], v[112:113], s[6:7], v[34:35]
	v_add_f64_e32 v[12:13], v[150:151], v[12:13]
	v_mul_f64_e32 v[150:151], s[30:31], v[106:107]
	v_add_f64_e32 v[24:25], v[28:29], v[24:25]
	v_mul_f64_e32 v[106:107], s[26:27], v[106:107]
	s_delay_alu instid0(VALU_DEP_3) | instskip(SKIP_1) | instid1(VALU_DEP_2)
	v_fma_f64 v[166:167], v[92:93], s[6:7], -v[150:151]
	v_fma_f64 v[28:29], v[92:93], s[6:7], v[150:151]
	v_add_f64_e32 v[14:15], v[166:167], v[14:15]
	v_mul_f64_e32 v[166:167], s[34:35], v[110:111]
	s_delay_alu instid0(VALU_DEP_3) | instskip(NEXT) | instid1(VALU_DEP_2)
	v_add_f64_e32 v[26:27], v[28:29], v[26:27]
	v_fma_f64 v[168:169], v[108:109], s[20:21], v[166:167]
	v_fma_f64 v[28:29], v[108:109], s[20:21], -v[166:167]
	v_mul_f64_e32 v[166:167], s[28:29], v[74:75]
	s_delay_alu instid0(VALU_DEP_3) | instskip(SKIP_1) | instid1(VALU_DEP_4)
	v_add_f64_e32 v[12:13], v[168:169], v[12:13]
	v_mul_f64_e32 v[168:169], s[34:35], v[120:121]
	v_add_f64_e32 v[24:25], v[28:29], v[24:25]
	s_delay_alu instid0(VALU_DEP_2) | instskip(SKIP_2) | instid1(VALU_DEP_3)
	v_fma_f64 v[28:29], v[96:97], s[20:21], v[168:169]
	v_fma_f64 v[170:171], v[96:97], s[20:21], -v[168:169]
	v_mul_f64_e32 v[168:169], s[38:39], v[102:103]
	v_add_f64_e32 v[26:27], v[28:29], v[26:27]
	v_fma_f64 v[28:29], v[116:117], s[14:15], -v[172:173]
	s_delay_alu instid0(VALU_DEP_4)
	v_add_f64_e32 v[170:171], v[170:171], v[14:15]
	v_fma_f64 v[14:15], v[116:117], s[14:15], v[172:173]
	v_mul_f64_e32 v[172:173], s[26:27], v[100:101]
	v_add_f64_e32 v[130:131], v[42:43], v[26:27]
	v_add_f64_e32 v[132:133], v[28:29], v[24:25]
	v_mul_f64_e32 v[24:25], s[52:53], v[126:127]
	v_mul_f64_e32 v[28:29], s[52:53], v[124:125]
	;; [unrolled: 1-line block ×3, first 2 shown]
	v_add_f64_e32 v[160:161], v[14:15], v[12:13]
	v_fma_f64 v[12:13], v[112:113], s[14:15], -v[174:175]
	v_mul_f64_e32 v[174:175], s[26:27], v[90:91]
	v_mul_f64_e32 v[90:91], s[30:31], v[90:91]
	v_fma_f64 v[26:27], v[66:67], s[14:15], v[24:25]
	v_fma_f64 v[24:25], v[66:67], s[14:15], -v[24:25]
	v_fma_f64 v[134:135], v[80:81], s[22:23], v[42:43]
	v_fma_f64 v[42:43], v[80:81], s[22:23], -v[42:43]
	v_add_f64_e32 v[158:159], v[12:13], v[170:171]
	v_mul_f64_e32 v[170:171], s[38:39], v[82:83]
	v_dual_mov_b32 v12, v60 :: v_dual_mov_b32 v13, v61
	v_dual_mov_b32 v14, v62 :: v_dual_mov_b32 v15, v63
	v_mul_f64_e32 v[60:61], s[40:41], v[82:83]
	v_mul_f64_e32 v[82:83], s[36:37], v[82:83]
	v_add_f64_e32 v[26:27], v[26:27], v[30:31]
	v_fma_f64 v[30:31], v[64:65], s[14:15], -v[28:29]
	v_add_f64_e32 v[24:25], v[24:25], v[154:155]
	v_fma_f64 v[28:29], v[64:65], s[14:15], v[28:29]
	v_fma_f64 v[62:63], v[76:77], s[22:23], v[60:61]
	v_add_f64_e32 v[26:27], v[134:135], v[26:27]
	v_add_f64_e32 v[30:31], v[30:31], v[140:141]
	v_fma_f64 v[140:141], v[80:81], s[18:19], -v[190:191]
	v_fma_f64 v[134:135], v[72:73], s[22:23], -v[166:167]
	v_add_f64_e32 v[24:25], v[42:43], v[24:25]
	v_fma_f64 v[42:43], v[72:73], s[22:23], v[166:167]
	s_delay_alu instid0(VALU_DEP_4) | instskip(SKIP_3) | instid1(VALU_DEP_3)
	v_add_f64_e32 v[40:41], v[140:141], v[40:41]
	v_fma_f64 v[140:141], v[72:73], s[18:19], v[192:193]
	v_add_f64_e32 v[30:31], v[134:135], v[30:31]
	v_fma_f64 v[134:135], v[78:79], s[8:9], v[168:169]
	v_add_f64_e32 v[138:139], v[140:141], v[138:139]
	v_fma_f64 v[140:141], v[78:79], s[16:17], -v[194:195]
	s_delay_alu instid0(VALU_DEP_3) | instskip(SKIP_1) | instid1(VALU_DEP_3)
	v_add_f64_e32 v[26:27], v[134:135], v[26:27]
	v_fma_f64 v[134:135], v[76:77], s[8:9], -v[170:171]
	v_add_f64_e32 v[40:41], v[140:141], v[40:41]
	v_fma_f64 v[140:141], v[76:77], s[16:17], v[196:197]
	s_delay_alu instid0(VALU_DEP_3) | instskip(SKIP_1) | instid1(VALU_DEP_3)
	v_add_f64_e32 v[30:31], v[134:135], v[30:31]
	v_fma_f64 v[134:135], v[94:95], s[16:17], v[172:173]
	v_add_f64_e32 v[138:139], v[140:141], v[138:139]
	v_fma_f64 v[140:141], v[94:95], s[14:15], -v[198:199]
	s_delay_alu instid0(VALU_DEP_3) | instskip(SKIP_1) | instid1(VALU_DEP_3)
	v_add_f64_e32 v[26:27], v[134:135], v[26:27]
	v_fma_f64 v[134:135], v[88:89], s[16:17], -v[174:175]
	v_add_f64_e32 v[40:41], v[140:141], v[40:41]
	v_fma_f64 v[140:141], v[88:89], s[14:15], v[200:201]
	s_delay_alu instid0(VALU_DEP_3) | instskip(SKIP_1) | instid1(VALU_DEP_3)
	;; [unrolled: 10-line block ×4, first 2 shown]
	v_add_f64_e32 v[30:31], v[134:135], v[30:31]
	v_fma_f64 v[134:135], v[116:117], s[18:19], v[184:185]
	v_add_f64_e32 v[138:139], v[140:141], v[138:139]
	v_fma_f64 v[140:141], v[116:117], s[6:7], -v[210:211]
	s_delay_alu instid0(VALU_DEP_3)
	v_add_f64_e32 v[136:137], v[134:135], v[26:27]
	v_mul_f64_e32 v[26:27], s[44:45], v[114:115]
	s_mov_b32 s45, 0x3fc7851a
	s_mov_b32 s44, s30
	s_wait_alu 0xfffe
	v_mul_f64_e32 v[242:243], s[44:45], v[122:123]
	v_mul_f64_e32 v[244:245], s[44:45], v[74:75]
	;; [unrolled: 1-line block ×3, first 2 shown]
	v_add_f64_e32 v[138:139], v[142:143], v[138:139]
	v_fma_f64 v[142:143], v[66:67], s[16:17], -v[212:213]
	v_add_f64_e32 v[140:141], v[140:141], v[40:41]
	v_fma_f64 v[134:135], v[112:113], s[18:19], -v[26:27]
	s_delay_alu instid0(VALU_DEP_3) | instskip(SKIP_1) | instid1(VALU_DEP_3)
	v_add_f64_e32 v[38:39], v[142:143], v[38:39]
	v_fma_f64 v[142:143], v[64:65], s[16:17], v[214:215]
	v_add_f64_e32 v[134:135], v[134:135], v[30:31]
	v_dual_mov_b32 v30, v52 :: v_dual_mov_b32 v31, v53
	v_dual_mov_b32 v32, v54 :: v_dual_mov_b32 v33, v55
	v_mul_f64_e32 v[52:53], s[30:31], v[124:125]
	v_mul_f64_e32 v[124:125], s[46:47], v[124:125]
	v_add_f64_e32 v[142:143], v[142:143], v[144:145]
	v_fma_f64 v[144:145], v[80:81], s[10:11], -v[216:217]
	s_delay_alu instid0(VALU_DEP_4) | instskip(NEXT) | instid1(VALU_DEP_2)
	v_fma_f64 v[54:55], v[64:65], s[6:7], v[52:53]
	v_add_f64_e32 v[38:39], v[144:145], v[38:39]
	v_fma_f64 v[144:145], v[72:73], s[10:11], v[218:219]
	s_delay_alu instid0(VALU_DEP_3) | instskip(SKIP_2) | instid1(VALU_DEP_4)
	v_add_f64_e32 v[54:55], v[54:55], v[162:163]
	v_mul_f64_e32 v[162:163], s[52:53], v[122:123]
	v_mul_f64_e32 v[122:123], s[34:35], v[122:123]
	v_add_f64_e32 v[142:143], v[144:145], v[142:143]
	v_fma_f64 v[144:145], v[78:79], s[6:7], -v[220:221]
	v_add_f64_e32 v[54:55], v[58:59], v[54:55]
	v_mul_f64_e32 v[58:59], s[40:41], v[102:103]
	s_delay_alu instid0(VALU_DEP_3) | instskip(SKIP_1) | instid1(VALU_DEP_4)
	v_add_f64_e32 v[38:39], v[144:145], v[38:39]
	v_fma_f64 v[144:145], v[76:77], s[6:7], v[222:223]
	v_add_f64_e32 v[54:55], v[62:63], v[54:55]
	v_mul_f64_e32 v[62:63], s[36:37], v[100:101]
	v_fma_f64 v[100:101], v[94:95], s[6:7], -v[0:1]
	v_fma_f64 v[0:1], v[94:95], s[6:7], v[0:1]
	v_add_f64_e32 v[142:143], v[144:145], v[142:143]
	v_fma_f64 v[144:145], v[94:95], s[8:9], -v[224:225]
	s_delay_alu instid0(VALU_DEP_1) | instskip(SKIP_1) | instid1(VALU_DEP_1)
	v_add_f64_e32 v[38:39], v[144:145], v[38:39]
	v_fma_f64 v[144:145], v[88:89], s[8:9], v[226:227]
	v_add_f64_e32 v[142:143], v[144:145], v[142:143]
	v_fma_f64 v[144:145], v[98:99], s[14:15], -v[228:229]
	s_delay_alu instid0(VALU_DEP_1) | instskip(SKIP_1) | instid1(VALU_DEP_1)
	v_add_f64_e32 v[38:39], v[144:145], v[38:39]
	;; [unrolled: 5-line block ×3, first 2 shown]
	v_fma_f64 v[144:145], v[96:97], s[18:19], v[234:235]
	v_add_f64_e32 v[142:143], v[144:145], v[142:143]
	v_fma_f64 v[144:145], v[116:117], s[22:23], -v[236:237]
	s_delay_alu instid0(VALU_DEP_2) | instskip(SKIP_1) | instid1(VALU_DEP_3)
	v_add_f64_e32 v[142:143], v[148:149], v[142:143]
	v_fma_f64 v[148:149], v[66:67], s[10:11], -v[238:239]
	v_add_f64_e32 v[144:145], v[144:145], v[38:39]
	v_dual_mov_b32 v38, v44 :: v_dual_mov_b32 v39, v45
	v_dual_mov_b32 v40, v46 :: v_dual_mov_b32 v41, v47
	v_mul_f64_e32 v[44:45], s[42:43], v[110:111]
	v_add_f64_e32 v[36:37], v[148:149], v[36:37]
	v_fma_f64 v[148:149], v[64:65], s[10:11], v[240:241]
	s_delay_alu instid0(VALU_DEP_3) | instskip(NEXT) | instid1(VALU_DEP_2)
	v_fma_f64 v[46:47], v[108:109], s[16:17], -v[44:45]
	v_add_f64_e32 v[146:147], v[148:149], v[146:147]
	v_fma_f64 v[148:149], v[80:81], s[6:7], -v[242:243]
	s_delay_alu instid0(VALU_DEP_1) | instskip(SKIP_1) | instid1(VALU_DEP_1)
	v_add_f64_e32 v[36:37], v[148:149], v[36:37]
	v_fma_f64 v[148:149], v[72:73], s[6:7], v[244:245]
	v_add_f64_e32 v[146:147], v[148:149], v[146:147]
	v_fma_f64 v[148:149], v[78:79], s[14:15], -v[246:247]
	s_delay_alu instid0(VALU_DEP_1) | instskip(SKIP_1) | instid1(VALU_DEP_1)
	v_add_f64_e32 v[36:37], v[148:149], v[36:37]
	v_fma_f64 v[148:149], v[76:77], s[14:15], v[248:249]
	;; [unrolled: 5-line block ×3, first 2 shown]
	v_add_f64_e32 v[146:147], v[148:149], v[146:147]
	v_fma_f64 v[148:149], v[98:99], s[22:23], -v[254:255]
	s_delay_alu instid0(VALU_DEP_1) | instskip(SKIP_1) | instid1(VALU_DEP_2)
	v_add_f64_e32 v[36:37], v[148:149], v[36:37]
	v_fma_f64 v[148:149], v[92:93], s[22:23], v[22:23]
	v_add_f64_e32 v[36:37], v[46:47], v[36:37]
	v_mul_f64_e32 v[46:47], s[42:43], v[120:121]
	s_delay_alu instid0(VALU_DEP_3) | instskip(SKIP_1) | instid1(VALU_DEP_3)
	v_add_f64_e32 v[146:147], v[148:149], v[146:147]
	v_mul_f64_e32 v[120:121], s[28:29], v[120:121]
	v_fma_f64 v[148:149], v[96:97], s[16:17], v[46:47]
	s_delay_alu instid0(VALU_DEP_1) | instskip(SKIP_2) | instid1(VALU_DEP_1)
	v_add_f64_e32 v[146:147], v[148:149], v[146:147]
	v_add_f64_e32 v[148:149], v[50:51], v[36:37]
	v_mul_f64_e32 v[36:37], s[38:39], v[114:115]
	v_fma_f64 v[50:51], v[112:113], s[8:9], v[36:37]
	s_delay_alu instid0(VALU_DEP_1) | instskip(SKIP_1) | instid1(VALU_DEP_1)
	v_add_f64_e32 v[146:147], v[50:51], v[146:147]
	v_mul_f64_e32 v[50:51], s[30:31], v[126:127]
	v_fma_f64 v[150:151], v[66:67], s[6:7], -v[50:51]
	s_delay_alu instid0(VALU_DEP_1) | instskip(SKIP_1) | instid1(VALU_DEP_1)
	v_add_f64_e32 v[20:21], v[150:151], v[20:21]
	v_fma_f64 v[150:151], v[80:81], s[14:15], -v[162:163]
	v_add_f64_e32 v[20:21], v[150:151], v[20:21]
	v_fma_f64 v[150:151], v[78:79], s[22:23], -v[58:59]
	s_delay_alu instid0(VALU_DEP_1) | instskip(SKIP_1) | instid1(VALU_DEP_1)
	v_add_f64_e32 v[20:21], v[150:151], v[20:21]
	v_fma_f64 v[150:151], v[94:95], s[18:19], -v[62:63]
	v_add_f64_e32 v[20:21], v[150:151], v[20:21]
	v_fma_f64 v[150:151], v[88:89], s[18:19], v[186:187]
	s_delay_alu instid0(VALU_DEP_1) | instskip(SKIP_2) | instid1(VALU_DEP_3)
	v_add_f64_e32 v[54:55], v[150:151], v[54:55]
	v_fma_f64 v[150:151], v[98:99], s[8:9], -v[2:3]
	v_fma_f64 v[2:3], v[98:99], s[8:9], v[2:3]
	v_add_f64_e32 v[6:7], v[6:7], v[54:55]
	v_mul_f64_e32 v[54:55], s[50:51], v[110:111]
	s_delay_alu instid0(VALU_DEP_4) | instskip(SKIP_1) | instid1(VALU_DEP_4)
	v_add_f64_e32 v[20:21], v[150:151], v[20:21]
	v_mul_f64_e32 v[110:111], s[28:29], v[110:111]
	v_add_f64_e32 v[6:7], v[10:11], v[6:7]
	s_delay_alu instid0(VALU_DEP_4) | instskip(SKIP_2) | instid1(VALU_DEP_3)
	v_fma_f64 v[150:151], v[108:109], s[10:11], -v[54:55]
	v_mul_f64_e32 v[10:11], s[34:35], v[118:119]
	v_mul_f64_e32 v[118:119], s[24:25], v[118:119]
	v_add_f64_e32 v[20:21], v[150:151], v[20:21]
	s_delay_alu instid0(VALU_DEP_3) | instskip(NEXT) | instid1(VALU_DEP_1)
	v_fma_f64 v[150:151], v[116:117], s[20:21], -v[10:11]
	v_add_f64_e32 v[152:153], v[150:151], v[20:21]
	v_mul_f64_e32 v[20:21], s[34:35], v[114:115]
	v_mul_f64_e32 v[114:115], s[24:25], v[114:115]
	s_delay_alu instid0(VALU_DEP_2) | instskip(NEXT) | instid1(VALU_DEP_1)
	v_fma_f64 v[150:151], v[112:113], s[20:21], v[20:21]
	v_add_f64_e32 v[150:151], v[150:151], v[6:7]
	v_mul_f64_e32 v[6:7], s[46:47], v[126:127]
	s_delay_alu instid0(VALU_DEP_1) | instskip(SKIP_1) | instid1(VALU_DEP_2)
	v_fma_f64 v[126:127], v[66:67], s[8:9], -v[6:7]
	v_fma_f64 v[6:7], v[66:67], s[8:9], v[6:7]
	v_add_f64_e32 v[84:85], v[126:127], v[84:85]
	v_fma_f64 v[126:127], v[64:65], s[8:9], v[124:125]
	s_delay_alu instid0(VALU_DEP_3) | instskip(NEXT) | instid1(VALU_DEP_2)
	v_add_f64_e32 v[6:7], v[6:7], v[156:157]
	v_add_f64_e32 v[86:87], v[126:127], v[86:87]
	v_fma_f64 v[126:127], v[80:81], s[20:21], -v[122:123]
	s_delay_alu instid0(VALU_DEP_1) | instskip(SKIP_1) | instid1(VALU_DEP_1)
	v_add_f64_e32 v[84:85], v[126:127], v[84:85]
	v_fma_f64 v[126:127], v[72:73], s[20:21], v[74:75]
	v_add_f64_e32 v[86:87], v[126:127], v[86:87]
	v_mul_f64_e32 v[126:127], s[36:37], v[102:103]
	s_delay_alu instid0(VALU_DEP_1) | instskip(NEXT) | instid1(VALU_DEP_1)
	v_fma_f64 v[102:103], v[78:79], s[18:19], -v[126:127]
	v_add_f64_e32 v[84:85], v[102:103], v[84:85]
	v_fma_f64 v[102:103], v[76:77], s[18:19], v[82:83]
	s_delay_alu instid0(VALU_DEP_2) | instskip(NEXT) | instid1(VALU_DEP_2)
	v_add_f64_e32 v[84:85], v[100:101], v[84:85]
	v_add_f64_e32 v[86:87], v[102:103], v[86:87]
	v_fma_f64 v[100:101], v[88:89], s[6:7], v[90:91]
	s_delay_alu instid0(VALU_DEP_1) | instskip(SKIP_1) | instid1(VALU_DEP_1)
	v_add_f64_e32 v[86:87], v[100:101], v[86:87]
	v_fma_f64 v[100:101], v[98:99], s[16:17], -v[104:105]
	v_add_f64_e32 v[84:85], v[100:101], v[84:85]
	v_fma_f64 v[100:101], v[92:93], s[16:17], v[106:107]
	s_delay_alu instid0(VALU_DEP_1) | instskip(SKIP_1) | instid1(VALU_DEP_1)
	v_add_f64_e32 v[86:87], v[100:101], v[86:87]
	v_fma_f64 v[100:101], v[108:109], s[22:23], -v[110:111]
	;; [unrolled: 5-line block ×3, first 2 shown]
	v_add_f64_e32 v[102:103], v[100:101], v[84:85]
	v_fma_f64 v[84:85], v[112:113], s[10:11], v[114:115]
	s_delay_alu instid0(VALU_DEP_1) | instskip(SKIP_4) | instid1(VALU_DEP_2)
	v_add_f64_e32 v[100:101], v[84:85], v[86:87]
	scratch_load_b64 v[84:85], off, off offset:272 th:TH_LOAD_LU ; 8-byte Folded Reload
	s_wait_loadcnt 0x0
	v_add_f64_e32 v[28:29], v[28:29], v[84:85]
	v_fma_f64 v[84:85], v[112:113], s[18:19], v[26:27]
	v_add_f64_e32 v[28:29], v[42:43], v[28:29]
	v_fma_f64 v[42:43], v[78:79], s[8:9], -v[168:169]
	s_delay_alu instid0(VALU_DEP_1) | instskip(SKIP_1) | instid1(VALU_DEP_1)
	v_add_f64_e32 v[24:25], v[42:43], v[24:25]
	v_fma_f64 v[42:43], v[76:77], s[8:9], v[170:171]
	v_add_f64_e32 v[28:29], v[42:43], v[28:29]
	v_fma_f64 v[42:43], v[94:95], s[16:17], -v[172:173]
	s_delay_alu instid0(VALU_DEP_1) | instskip(SKIP_1) | instid1(VALU_DEP_1)
	;; [unrolled: 5-line block ×4, first 2 shown]
	v_add_f64_e32 v[24:25], v[42:43], v[24:25]
	v_fma_f64 v[42:43], v[96:97], s[6:7], v[182:183]
	v_add_f64_e32 v[28:29], v[42:43], v[28:29]
	v_fma_f64 v[42:43], v[116:117], s[18:19], -v[184:185]
	s_delay_alu instid0(VALU_DEP_1) | instskip(NEXT) | instid1(VALU_DEP_3)
	v_add_f64_e32 v[26:27], v[42:43], v[24:25]
	v_add_f64_e32 v[24:25], v[84:85], v[28:29]
	v_fma_f64 v[28:29], v[64:65], s[8:9], -v[124:125]
	v_fma_f64 v[42:43], v[80:81], s[20:21], v[122:123]
	s_delay_alu instid0(VALU_DEP_2) | instskip(NEXT) | instid1(VALU_DEP_2)
	v_add_f64_e32 v[28:29], v[28:29], v[164:165]
	v_add_f64_e32 v[6:7], v[42:43], v[6:7]
	v_fma_f64 v[42:43], v[72:73], s[20:21], -v[74:75]
	s_delay_alu instid0(VALU_DEP_1) | instskip(SKIP_1) | instid1(VALU_DEP_1)
	v_add_f64_e32 v[28:29], v[42:43], v[28:29]
	v_fma_f64 v[42:43], v[78:79], s[18:19], v[126:127]
	v_add_f64_e32 v[6:7], v[42:43], v[6:7]
	v_fma_f64 v[42:43], v[76:77], s[18:19], -v[82:83]
	s_delay_alu instid0(VALU_DEP_2) | instskip(NEXT) | instid1(VALU_DEP_2)
	v_add_f64_e32 v[0:1], v[0:1], v[6:7]
	v_add_f64_e32 v[28:29], v[42:43], v[28:29]
	v_fma_f64 v[6:7], v[88:89], s[6:7], -v[90:91]
	v_fma_f64 v[42:43], v[112:113], s[10:11], -v[114:115]
	s_delay_alu instid0(VALU_DEP_2) | instskip(SKIP_1) | instid1(VALU_DEP_1)
	v_add_f64_e32 v[6:7], v[6:7], v[28:29]
	v_fma_f64 v[28:29], v[98:99], s[16:17], v[104:105]
	v_add_f64_e32 v[0:1], v[28:29], v[0:1]
	v_fma_f64 v[28:29], v[92:93], s[16:17], -v[106:107]
	s_delay_alu instid0(VALU_DEP_1) | instskip(SKIP_1) | instid1(VALU_DEP_1)
	v_add_f64_e32 v[6:7], v[28:29], v[6:7]
	v_fma_f64 v[28:29], v[108:109], s[22:23], v[110:111]
	v_add_f64_e32 v[0:1], v[28:29], v[0:1]
	v_fma_f64 v[28:29], v[96:97], s[22:23], -v[120:121]
	s_delay_alu instid0(VALU_DEP_1) | instskip(SKIP_1) | instid1(VALU_DEP_2)
	v_add_f64_e32 v[6:7], v[28:29], v[6:7]
	v_fma_f64 v[28:29], v[116:117], s[10:11], v[118:119]
	v_add_f64_e32 v[118:119], v[42:43], v[6:7]
	scratch_load_b64 v[6:7], off, off offset:264 th:TH_LOAD_LU ; 8-byte Folded Reload
	v_add_f64_e32 v[120:121], v[28:29], v[0:1]
	v_fma_f64 v[0:1], v[66:67], s[6:7], v[50:51]
	s_wait_loadcnt 0x0
	s_delay_alu instid0(VALU_DEP_1) | instskip(SKIP_1) | instid1(VALU_DEP_1)
	v_add_f64_e32 v[0:1], v[0:1], v[6:7]
	v_fma_f64 v[6:7], v[80:81], s[14:15], v[162:163]
	v_add_f64_e32 v[0:1], v[6:7], v[0:1]
	v_fma_f64 v[6:7], v[78:79], s[22:23], v[58:59]
	s_delay_alu instid0(VALU_DEP_1) | instskip(SKIP_1) | instid1(VALU_DEP_1)
	v_add_f64_e32 v[0:1], v[6:7], v[0:1]
	v_fma_f64 v[6:7], v[94:95], s[18:19], v[62:63]
	v_add_f64_e32 v[0:1], v[6:7], v[0:1]
	scratch_load_b64 v[6:7], off, off offset:256 th:TH_LOAD_LU ; 8-byte Folded Reload
	v_add_f64_e32 v[0:1], v[2:3], v[0:1]
	v_fma_f64 v[2:3], v[64:65], s[6:7], -v[52:53]
	s_wait_loadcnt 0x0
	s_delay_alu instid0(VALU_DEP_1) | instskip(SKIP_3) | instid1(VALU_DEP_3)
	v_add_f64_e32 v[2:3], v[2:3], v[6:7]
	v_fma_f64 v[6:7], v[72:73], s[14:15], -v[56:57]
	v_dual_mov_b32 v59, v19 :: v_dual_mov_b32 v58, v18
	v_dual_mov_b32 v57, v17 :: v_dual_mov_b32 v56, v16
	v_add_f64_e32 v[2:3], v[6:7], v[2:3]
	v_fma_f64 v[6:7], v[76:77], s[22:23], -v[60:61]
	v_dual_mov_b32 v63, v15 :: v_dual_mov_b32 v62, v14
	v_dual_mov_b32 v61, v13 :: v_dual_mov_b32 v60, v12
	s_delay_alu instid0(VALU_DEP_3) | instskip(SKIP_1) | instid1(VALU_DEP_1)
	v_add_f64_e32 v[2:3], v[6:7], v[2:3]
	v_fma_f64 v[6:7], v[88:89], s[18:19], -v[186:187]
	v_add_f64_e32 v[2:3], v[6:7], v[2:3]
	v_fma_f64 v[6:7], v[92:93], s[8:9], -v[8:9]
	scratch_load_b64 v[8:9], off, off offset:68 th:TH_LOAD_LU ; 8-byte Folded Reload
	v_add_f64_e32 v[2:3], v[6:7], v[2:3]
	v_fma_f64 v[6:7], v[108:109], s[10:11], v[54:55]
	v_dual_mov_b32 v55, v33 :: v_dual_mov_b32 v54, v32
	v_dual_mov_b32 v53, v31 :: v_dual_mov_b32 v52, v30
	s_delay_alu instid0(VALU_DEP_4) | instskip(NEXT) | instid1(VALU_DEP_4)
	v_add_f64_e32 v[2:3], v[4:5], v[2:3]
	v_add_f64_e32 v[0:1], v[6:7], v[0:1]
	v_fma_f64 v[6:7], v[112:113], s[20:21], -v[20:21]
	v_fma_f64 v[4:5], v[116:117], s[20:21], v[10:11]
	s_delay_alu instid0(VALU_DEP_2)
	v_add_f64_e32 v[122:123], v[6:7], v[2:3]
	scratch_load_b64 v[2:3], off, off offset:248 th:TH_LOAD_LU ; 8-byte Folded Reload
	v_add_f64_e32 v[124:125], v[4:5], v[0:1]
	scratch_load_b64 v[4:5], off, off offset:240 th:TH_LOAD_LU ; 8-byte Folded Reload
	v_fma_f64 v[0:1], v[66:67], s[10:11], v[238:239]
	v_fma_f64 v[6:7], v[112:113], s[8:9], -v[36:37]
	s_wait_loadcnt 0x1
	s_delay_alu instid0(VALU_DEP_2) | instskip(SKIP_2) | instid1(VALU_DEP_1)
	v_add_f64_e32 v[0:1], v[0:1], v[2:3]
	v_fma_f64 v[2:3], v[64:65], s[10:11], -v[240:241]
	s_wait_loadcnt 0x0
	v_add_f64_e32 v[2:3], v[2:3], v[4:5]
	v_fma_f64 v[4:5], v[80:81], s[6:7], v[242:243]
	s_delay_alu instid0(VALU_DEP_1) | instskip(SKIP_1) | instid1(VALU_DEP_1)
	v_add_f64_e32 v[0:1], v[4:5], v[0:1]
	v_fma_f64 v[4:5], v[72:73], s[6:7], -v[244:245]
	v_add_f64_e32 v[2:3], v[4:5], v[2:3]
	v_fma_f64 v[4:5], v[78:79], s[14:15], v[246:247]
	s_delay_alu instid0(VALU_DEP_1) | instskip(SKIP_1) | instid1(VALU_DEP_1)
	v_add_f64_e32 v[0:1], v[4:5], v[0:1]
	v_fma_f64 v[4:5], v[76:77], s[14:15], -v[248:249]
	;; [unrolled: 5-line block ×3, first 2 shown]
	v_add_f64_e32 v[2:3], v[4:5], v[2:3]
	v_fma_f64 v[4:5], v[98:99], s[22:23], v[254:255]
	scratch_load_b32 v254, off, off offset:8 ; 4-byte Folded Reload
	v_add_f64_e32 v[0:1], v[4:5], v[0:1]
	v_fma_f64 v[4:5], v[92:93], s[22:23], -v[22:23]
	s_delay_alu instid0(VALU_DEP_1) | instskip(SKIP_1) | instid1(VALU_DEP_1)
	v_add_f64_e32 v[2:3], v[4:5], v[2:3]
	v_fma_f64 v[4:5], v[108:109], s[16:17], v[44:45]
	v_add_f64_e32 v[0:1], v[4:5], v[0:1]
	v_fma_f64 v[4:5], v[96:97], s[16:17], -v[46:47]
	v_dual_mov_b32 v47, v41 :: v_dual_mov_b32 v46, v40
	v_dual_mov_b32 v45, v39 :: v_dual_mov_b32 v44, v38
	s_delay_alu instid0(VALU_DEP_3) | instskip(SKIP_1) | instid1(VALU_DEP_2)
	v_add_f64_e32 v[2:3], v[4:5], v[2:3]
	v_fma_f64 v[4:5], v[116:117], s[8:9], v[48:49]
	v_add_f64_e32 v[154:155], v[6:7], v[2:3]
	scratch_load_b64 v[2:3], off, off offset:232 th:TH_LOAD_LU ; 8-byte Folded Reload
	v_add_f64_e32 v[156:157], v[4:5], v[0:1]
	scratch_load_b64 v[4:5], off, off offset:224 th:TH_LOAD_LU ; 8-byte Folded Reload
	v_fma_f64 v[0:1], v[66:67], s[16:17], v[212:213]
	v_fma_f64 v[6:7], v[112:113], s[22:23], -v[70:71]
	s_wait_loadcnt 0x1
	s_delay_alu instid0(VALU_DEP_2) | instskip(SKIP_2) | instid1(VALU_DEP_1)
	v_add_f64_e32 v[0:1], v[0:1], v[2:3]
	v_fma_f64 v[2:3], v[64:65], s[16:17], -v[214:215]
	s_wait_loadcnt 0x0
	v_add_f64_e32 v[2:3], v[2:3], v[4:5]
	v_fma_f64 v[4:5], v[80:81], s[10:11], v[216:217]
	s_delay_alu instid0(VALU_DEP_1) | instskip(SKIP_1) | instid1(VALU_DEP_1)
	v_add_f64_e32 v[0:1], v[4:5], v[0:1]
	v_fma_f64 v[4:5], v[72:73], s[10:11], -v[218:219]
	v_add_f64_e32 v[2:3], v[4:5], v[2:3]
	v_fma_f64 v[4:5], v[78:79], s[6:7], v[220:221]
	s_delay_alu instid0(VALU_DEP_1) | instskip(SKIP_1) | instid1(VALU_DEP_1)
	v_add_f64_e32 v[0:1], v[4:5], v[0:1]
	v_fma_f64 v[4:5], v[76:77], s[6:7], -v[222:223]
	;; [unrolled: 5-line block ×5, first 2 shown]
	v_add_f64_e32 v[2:3], v[4:5], v[2:3]
	v_fma_f64 v[4:5], v[116:117], s[22:23], v[236:237]
	s_delay_alu instid0(VALU_DEP_2)
	v_add_f64_e32 v[82:83], v[6:7], v[2:3]
	scratch_load_b64 v[6:7], off, off offset:212 th:TH_LOAD_LU ; 8-byte Folded Reload
	v_add_f64_e32 v[84:85], v[4:5], v[0:1]
	v_fma_f64 v[0:1], v[66:67], s[20:21], v[68:69]
	v_fma_f64 v[2:3], v[64:65], s[20:21], -v[188:189]
	v_fma_f64 v[4:5], v[80:81], s[18:19], v[190:191]
	s_delay_alu instid0(VALU_DEP_2) | instskip(SKIP_4) | instid1(VALU_DEP_2)
	v_add_f64_e32 v[2:3], v[2:3], v[8:9]
	v_fma_f64 v[8:9], v[78:79], s[16:17], v[194:195]
	s_wait_loadcnt 0x0
	v_add_f64_e32 v[0:1], v[0:1], v[6:7]
	v_fma_f64 v[6:7], v[72:73], s[18:19], -v[192:193]
	v_add_f64_e32 v[0:1], v[4:5], v[0:1]
	v_fma_f64 v[4:5], v[76:77], s[16:17], -v[196:197]
	s_delay_alu instid0(VALU_DEP_3) | instskip(SKIP_1) | instid1(VALU_DEP_4)
	v_add_f64_e32 v[2:3], v[6:7], v[2:3]
	v_fma_f64 v[6:7], v[94:95], s[14:15], v[198:199]
	v_add_f64_e32 v[0:1], v[8:9], v[0:1]
	v_fma_f64 v[8:9], v[88:89], s[14:15], -v[200:201]
	s_delay_alu instid0(VALU_DEP_4) | instskip(SKIP_1) | instid1(VALU_DEP_4)
	v_add_f64_e32 v[2:3], v[4:5], v[2:3]
	v_fma_f64 v[4:5], v[98:99], s[10:11], v[202:203]
	v_add_f64_e32 v[0:1], v[6:7], v[0:1]
	v_fma_f64 v[6:7], v[92:93], s[10:11], -v[204:205]
	s_delay_alu instid0(VALU_DEP_4) | instskip(SKIP_1) | instid1(VALU_DEP_4)
	;; [unrolled: 5-line block ×3, first 2 shown]
	v_add_f64_e32 v[2:3], v[6:7], v[2:3]
	v_fma_f64 v[6:7], v[116:117], s[6:7], v[210:211]
	v_add_f64_e32 v[0:1], v[8:9], v[0:1]
	v_fma_f64 v[8:9], v[112:113], s[6:7], -v[34:35]
	s_delay_alu instid0(VALU_DEP_4) | instskip(NEXT) | instid1(VALU_DEP_3)
	v_add_f64_e32 v[2:3], v[4:5], v[2:3]
	v_add_f64_e32 v[66:67], v[6:7], v[0:1]
	scratch_load_b32 v1, off, off offset:16 th:TH_LOAD_LU ; 4-byte Folded Reload
	v_mul_lo_u16 v0, v254, 17
	v_add_f64_e32 v[64:65], v[8:9], v[2:3]
	s_delay_alu instid0(VALU_DEP_2) | instskip(SKIP_1) | instid1(VALU_DEP_1)
	v_and_b32_e32 v0, 0xffff, v0
	s_wait_loadcnt 0x0
	v_lshl_add_u32 v0, v0, 4, v1
	scratch_load_b128 v[1:4], off, off offset:20 th:TH_LOAD_LU ; 16-byte Folded Reload
	s_wait_loadcnt 0x0
	ds_store_b128 v0, v[1:4]
	ds_store_b128 v0, v[138:141] offset:16
	ds_store_b128 v0, v[142:145] offset:32
	;; [unrolled: 1-line block ×7, first 2 shown]
	scratch_load_b128 v[1:4], off, off offset:52 th:TH_LOAD_LU ; 16-byte Folded Reload
	s_wait_loadcnt 0x0
	ds_store_b128 v0, v[1:4] offset:128
	scratch_load_b128 v[1:4], off, off offset:36 th:TH_LOAD_LU ; 16-byte Folded Reload
	s_wait_loadcnt 0x0
	ds_store_b128 v0, v[1:4] offset:144
	ds_store_b128 v0, v[158:161] offset:160
	;; [unrolled: 1-line block ×8, first 2 shown]
.LBB0_13:
	s_or_b32 exec_lo, exec_lo, s33
	global_wb scope:SCOPE_SE
	s_wait_storecnt_dscnt 0x0
	s_barrier_signal -1
	s_barrier_wait -1
	global_inv scope:SCOPE_SE
	ds_load_b128 v[0:3], v128 offset:272
	ds_load_b128 v[64:67], v128
	s_mov_b32 s44, 0x4267c47c
	s_mov_b32 s30, 0x42a4c3d2
	;; [unrolled: 1-line block ×18, first 2 shown]
	s_wait_dscnt 0x1
	v_mul_f64_e32 v[4:5], v[54:55], v[2:3]
	s_mov_b32 s19, 0x3fec55a7
	s_mov_b32 s15, 0x3fe22d96
	;; [unrolled: 1-line block ×12, first 2 shown]
	s_wait_alu 0xfffe
	s_mov_b32 s40, s44
	s_mov_b32 s38, s30
	;; [unrolled: 1-line block ×6, first 2 shown]
	s_delay_alu instid0(VALU_DEP_1) | instskip(SKIP_1) | instid1(VALU_DEP_1)
	v_fma_f64 v[48:49], v[52:53], v[0:1], v[4:5]
	v_mul_f64_e32 v[0:1], v[54:55], v[0:1]
	v_fma_f64 v[50:51], v[52:53], v[2:3], -v[0:1]
	ds_load_b128 v[0:3], v128 offset:544
	ds_load_b128 v[12:15], v128 offset:816
	scratch_load_b128 v[16:19], off, off offset:116 th:TH_LOAD_LU ; 16-byte Folded Reload
	s_wait_loadcnt_dscnt 0x1
	v_mul_f64_e32 v[4:5], v[18:19], v[0:1]
	s_delay_alu instid0(VALU_DEP_1) | instskip(SKIP_1) | instid1(VALU_DEP_1)
	v_fma_f64 v[8:9], v[16:17], v[2:3], -v[4:5]
	v_mul_f64_e32 v[2:3], v[18:19], v[2:3]
	v_fma_f64 v[10:11], v[16:17], v[0:1], v[2:3]
	scratch_load_b128 v[16:19], off, off offset:84 th:TH_LOAD_LU ; 16-byte Folded Reload
	ds_load_b128 v[2:5], v128 offset:3264
	s_wait_loadcnt_dscnt 0x0
	v_mul_f64_e32 v[0:1], v[18:19], v[2:3]
	s_delay_alu instid0(VALU_DEP_1) | instskip(SKIP_1) | instid1(VALU_DEP_1)
	v_fma_f64 v[0:1], v[16:17], v[4:5], -v[0:1]
	v_mul_f64_e32 v[4:5], v[18:19], v[4:5]
	v_fma_f64 v[2:3], v[16:17], v[2:3], v[4:5]
	ds_load_b128 v[16:19], v128 offset:2992
	ds_load_b128 v[20:23], v128 offset:2720
	scratch_load_b128 v[24:27], off, off offset:100 th:TH_LOAD_LU ; 16-byte Folded Reload
	v_add_f64_e64 v[88:89], v[48:49], -v[2:3]
	s_wait_loadcnt_dscnt 0x1
	v_mul_f64_e32 v[4:5], v[26:27], v[16:17]
	v_mul_f64_e32 v[6:7], v[26:27], v[18:19]
	s_delay_alu instid0(VALU_DEP_2) | instskip(NEXT) | instid1(VALU_DEP_2)
	v_fma_f64 v[4:5], v[24:25], v[18:19], -v[4:5]
	v_fma_f64 v[6:7], v[24:25], v[16:17], v[6:7]
	scratch_load_b128 v[24:27], off, off offset:148 th:TH_LOAD_LU ; 16-byte Folded Reload
	v_add_f64_e64 v[120:121], v[8:9], -v[4:5]
	v_add_f64_e32 v[122:123], v[8:9], v[4:5]
	s_delay_alu instid0(VALU_DEP_2) | instskip(NEXT) | instid1(VALU_DEP_2)
	v_mul_f64_e32 v[170:171], s[22:23], v[120:121]
	v_mul_f64_e32 v[172:173], s[10:11], v[122:123]
	;; [unrolled: 1-line block ×4, first 2 shown]
	s_wait_alu 0xfffe
	v_mul_f64_e32 v[210:211], s[24:25], v[120:121]
	v_mul_f64_e32 v[212:213], s[8:9], v[122:123]
	s_wait_loadcnt 0x0
	v_mul_f64_e32 v[16:17], v[26:27], v[14:15]
	s_delay_alu instid0(VALU_DEP_1) | instskip(SKIP_1) | instid1(VALU_DEP_1)
	v_fma_f64 v[16:17], v[24:25], v[12:13], v[16:17]
	v_mul_f64_e32 v[12:13], v[26:27], v[12:13]
	v_fma_f64 v[18:19], v[24:25], v[14:15], -v[12:13]
	scratch_load_b128 v[24:27], off, off offset:180 th:TH_LOAD_LU ; 16-byte Folded Reload
	s_wait_loadcnt_dscnt 0x0
	v_mul_f64_e32 v[12:13], v[26:27], v[22:23]
	v_mul_f64_e32 v[14:15], v[26:27], v[20:21]
	s_delay_alu instid0(VALU_DEP_2) | instskip(NEXT) | instid1(VALU_DEP_2)
	v_fma_f64 v[12:13], v[24:25], v[20:21], v[12:13]
	v_fma_f64 v[14:15], v[24:25], v[22:23], -v[14:15]
	ds_load_b128 v[20:23], v128 offset:1088
	ds_load_b128 v[28:31], v128 offset:1360
	s_wait_dscnt 0x1
	v_mul_f64_e32 v[24:25], v[46:47], v[22:23]
	v_add_f64_e64 v[130:131], v[16:17], -v[12:13]
	v_add_f64_e64 v[124:125], v[18:19], -v[14:15]
	v_add_f64_e32 v[126:127], v[18:19], v[14:15]
	s_delay_alu instid0(VALU_DEP_4) | instskip(SKIP_1) | instid1(VALU_DEP_4)
	v_fma_f64 v[24:25], v[44:45], v[20:21], v[24:25]
	v_mul_f64_e32 v[20:21], v[46:47], v[20:21]
	v_mul_f64_e32 v[174:175], s[26:27], v[124:125]
	s_delay_alu instid0(VALU_DEP_4)
	v_mul_f64_e32 v[132:133], s[16:17], v[126:127]
	v_mul_f64_e32 v[176:177], s[6:7], v[126:127]
	;; [unrolled: 1-line block ×8, first 2 shown]
	v_fma_f64 v[26:27], v[44:45], v[22:23], -v[20:21]
	ds_load_b128 v[32:35], v128 offset:2448
	ds_load_b128 v[44:47], v128 offset:2176
	scratch_load_b128 v[36:39], off, off offset:132 th:TH_LOAD_LU ; 16-byte Folded Reload
	s_wait_loadcnt_dscnt 0x1
	v_mul_f64_e32 v[20:21], v[38:39], v[34:35]
	v_mul_f64_e32 v[22:23], v[38:39], v[32:33]
	s_delay_alu instid0(VALU_DEP_2) | instskip(NEXT) | instid1(VALU_DEP_2)
	v_fma_f64 v[20:21], v[36:37], v[32:33], v[20:21]
	v_fma_f64 v[22:23], v[36:37], v[34:35], -v[22:23]
	scratch_load_b128 v[34:37], off, off offset:196 th:TH_LOAD_LU ; 16-byte Folded Reload
	v_add_f64_e32 v[136:137], v[24:25], v[20:21]
	v_add_f64_e64 v[134:135], v[26:27], -v[22:23]
	v_add_f64_e32 v[140:141], v[26:27], v[22:23]
	v_add_f64_e64 v[142:143], v[24:25], -v[20:21]
	s_delay_alu instid0(VALU_DEP_3) | instskip(NEXT) | instid1(VALU_DEP_3)
	v_mul_f64_e32 v[138:139], s[22:23], v[134:135]
	v_mul_f64_e32 v[144:145], s[10:11], v[140:141]
	;; [unrolled: 1-line block ×10, first 2 shown]
	s_wait_loadcnt 0x0
	v_mul_f64_e32 v[32:33], v[36:37], v[30:31]
	s_delay_alu instid0(VALU_DEP_1) | instskip(SKIP_1) | instid1(VALU_DEP_1)
	v_fma_f64 v[32:33], v[34:35], v[28:29], v[32:33]
	v_mul_f64_e32 v[28:29], v[36:37], v[28:29]
	v_fma_f64 v[34:35], v[34:35], v[30:31], -v[28:29]
	s_wait_dscnt 0x0
	v_mul_f64_e32 v[28:29], v[62:63], v[46:47]
	v_mul_f64_e32 v[30:31], v[62:63], v[44:45]
	s_delay_alu instid0(VALU_DEP_2) | instskip(NEXT) | instid1(VALU_DEP_2)
	v_fma_f64 v[28:29], v[60:61], v[44:45], v[28:29]
	v_fma_f64 v[30:31], v[60:61], v[46:47], -v[30:31]
	ds_load_b128 v[44:47], v128 offset:1632
	ds_load_b128 v[52:55], v128 offset:1904
	v_add_f64_e32 v[60:61], v[48:49], v[2:3]
	s_wait_dscnt 0x1
	v_mul_f64_e32 v[36:37], v[58:59], v[46:47]
	v_mul_f64_e32 v[38:39], v[58:59], v[44:45]
	v_add_f64_e32 v[148:149], v[32:33], v[28:29]
	v_add_f64_e64 v[146:147], v[34:35], -v[30:31]
	v_add_f64_e32 v[152:153], v[34:35], v[30:31]
	v_add_f64_e64 v[154:155], v[32:33], -v[28:29]
	v_fma_f64 v[36:37], v[56:57], v[44:45], v[36:37]
	v_fma_f64 v[38:39], v[56:57], v[46:47], -v[38:39]
	scratch_load_b128 v[44:47], off, off offset:164 th:TH_LOAD_LU ; 16-byte Folded Reload
	v_mul_f64_e32 v[150:151], s[36:37], v[146:147]
	v_mul_f64_e32 v[156:157], s[8:9], v[152:153]
	;; [unrolled: 1-line block ×10, first 2 shown]
	s_wait_loadcnt_dscnt 0x0
	v_mul_f64_e32 v[40:41], v[46:47], v[54:55]
	v_mul_f64_e32 v[42:43], v[46:47], v[52:53]
	s_delay_alu instid0(VALU_DEP_2) | instskip(NEXT) | instid1(VALU_DEP_2)
	v_fma_f64 v[40:41], v[44:45], v[52:53], v[40:41]
	v_fma_f64 v[42:43], v[44:45], v[54:55], -v[42:43]
	v_add_f64_e64 v[44:45], v[50:51], -v[0:1]
	s_delay_alu instid0(VALU_DEP_3) | instskip(NEXT) | instid1(VALU_DEP_3)
	v_add_f64_e32 v[160:161], v[36:37], v[40:41]
	v_add_f64_e64 v[158:159], v[38:39], -v[42:43]
	s_delay_alu instid0(VALU_DEP_3)
	v_mul_f64_e32 v[46:47], s[44:45], v[44:45]
	v_mul_f64_e32 v[52:53], s[30:31], v[44:45]
	v_mul_f64_e32 v[54:55], s[42:43], v[44:45]
	v_mul_f64_e32 v[56:57], s[22:23], v[44:45]
	v_mul_f64_e32 v[58:59], s[36:37], v[44:45]
	v_mul_f64_e32 v[44:45], s[26:27], v[44:45]
	v_add_f64_e32 v[164:165], v[38:39], v[42:43]
	v_add_f64_e64 v[166:167], v[36:37], -v[40:41]
	v_mul_f64_e32 v[162:163], s[26:27], v[158:159]
	v_fma_f64 v[62:63], v[60:61], s[18:19], v[46:47]
	v_fma_f64 v[68:69], v[60:61], s[18:19], -v[46:47]
	v_fma_f64 v[70:71], v[60:61], s[14:15], v[52:53]
	v_fma_f64 v[52:53], v[60:61], s[14:15], -v[52:53]
	;; [unrolled: 2-line block ×6, first 2 shown]
	v_add_f64_e32 v[44:45], v[50:51], v[0:1]
	v_mul_f64_e32 v[168:169], s[6:7], v[164:165]
	v_mul_f64_e32 v[186:187], s[40:41], v[158:159]
	;; [unrolled: 1-line block ×9, first 2 shown]
	v_add_f64_e32 v[106:107], v[64:65], v[70:71]
	v_add_f64_e32 v[70:71], v[64:65], v[74:75]
	;; [unrolled: 1-line block ×5, first 2 shown]
	v_mul_f64_e32 v[58:59], s[30:31], v[120:121]
	v_add_f64_e32 v[116:117], v[64:65], v[60:61]
	v_mul_f64_e32 v[46:47], s[18:19], v[44:45]
	v_mul_f64_e32 v[54:55], s[14:15], v[44:45]
	;; [unrolled: 1-line block ×6, first 2 shown]
	v_add_f64_e32 v[108:109], v[64:65], v[78:79]
	v_add_f64_e32 v[114:115], v[64:65], v[80:81]
	v_fma_f64 v[60:61], v[56:57], s[14:15], -v[58:59]
	v_fma_f64 v[90:91], v[88:89], s[44:45], v[46:47]
	v_fma_f64 v[92:93], v[88:89], s[40:41], v[46:47]
	;; [unrolled: 1-line block ×12, first 2 shown]
	v_add_f64_e32 v[44:45], v[64:65], v[48:49]
	v_add_f64_e32 v[48:49], v[64:65], v[62:63]
	;; [unrolled: 1-line block ×20, first 2 shown]
	v_add_f64_e64 v[60:61], v[10:11], -v[6:7]
	v_mul_f64_e32 v[62:63], s[14:15], v[122:123]
	v_mul_f64_e32 v[66:67], s[42:43], v[124:125]
	v_add_f64_e32 v[10:11], v[44:45], v[10:11]
	v_add_f64_e32 v[8:9], v[46:47], v[8:9]
	v_fma_f64 v[82:83], v[60:61], s[28:29], v[172:173]
	v_fma_f64 v[64:65], v[60:61], s[30:31], v[62:63]
	;; [unrolled: 1-line block ×3, first 2 shown]
	v_add_f64_e32 v[10:11], v[10:11], v[16:17]
	v_add_f64_e32 v[8:9], v[8:9], v[18:19]
	;; [unrolled: 1-line block ×6, first 2 shown]
	v_fma_f64 v[90:91], v[60:61], s[36:37], v[212:213]
	v_add_f64_e32 v[10:11], v[10:11], v[24:25]
	v_add_f64_e32 v[8:9], v[8:9], v[26:27]
	v_fma_f64 v[80:81], v[64:65], s[16:17], -v[66:67]
	v_fma_f64 v[84:85], v[64:65], s[6:7], v[174:175]
	v_fma_f64 v[88:89], v[64:65], s[10:11], v[194:195]
	v_add_f64_e32 v[90:91], v[90:91], v[100:101]
	v_fma_f64 v[96:97], v[64:65], s[14:15], v[230:231]
	v_mul_f64_e32 v[100:101], s[40:41], v[120:121]
	v_add_f64_e32 v[10:11], v[10:11], v[32:33]
	v_add_f64_e32 v[8:9], v[8:9], v[34:35]
	;; [unrolled: 1-line block ×3, first 2 shown]
	v_fma_f64 v[80:81], v[130:131], s[42:43], v[132:133]
	s_delay_alu instid0(VALU_DEP_4) | instskip(NEXT) | instid1(VALU_DEP_4)
	v_add_f64_e32 v[10:11], v[10:11], v[36:37]
	v_add_f64_e32 v[8:9], v[8:9], v[38:39]
	s_delay_alu instid0(VALU_DEP_3) | instskip(SKIP_1) | instid1(VALU_DEP_4)
	v_add_f64_e32 v[78:79], v[80:81], v[78:79]
	v_fma_f64 v[80:81], v[136:137], s[10:11], -v[138:139]
	v_add_f64_e32 v[10:11], v[10:11], v[40:41]
	s_delay_alu instid0(VALU_DEP_4) | instskip(NEXT) | instid1(VALU_DEP_3)
	v_add_f64_e32 v[8:9], v[8:9], v[42:43]
	v_add_f64_e32 v[76:77], v[80:81], v[76:77]
	v_fma_f64 v[80:81], v[142:143], s[22:23], v[144:145]
	s_delay_alu instid0(VALU_DEP_4) | instskip(NEXT) | instid1(VALU_DEP_4)
	v_add_f64_e32 v[10:11], v[10:11], v[28:29]
	v_add_f64_e32 v[8:9], v[8:9], v[30:31]
	s_delay_alu instid0(VALU_DEP_3) | instskip(SKIP_1) | instid1(VALU_DEP_4)
	v_add_f64_e32 v[78:79], v[80:81], v[78:79]
	v_fma_f64 v[80:81], v[148:149], s[8:9], -v[150:151]
	v_add_f64_e32 v[10:11], v[10:11], v[20:21]
	s_delay_alu instid0(VALU_DEP_4) | instskip(NEXT) | instid1(VALU_DEP_3)
	v_add_f64_e32 v[8:9], v[8:9], v[22:23]
	v_add_f64_e32 v[76:77], v[80:81], v[76:77]
	;; [unrolled: 11-line block ×3, first 2 shown]
	v_fma_f64 v[80:81], v[166:167], s[26:27], v[168:169]
	s_delay_alu instid0(VALU_DEP_4) | instskip(NEXT) | instid1(VALU_DEP_4)
	v_add_f64_e32 v[2:3], v[6:7], v[2:3]
	v_add_f64_e32 v[4:5], v[4:5], v[0:1]
	s_delay_alu instid0(VALU_DEP_3) | instskip(SKIP_1) | instid1(VALU_DEP_1)
	v_add_f64_e32 v[78:79], v[80:81], v[78:79]
	v_fma_f64 v[80:81], v[56:57], s[10:11], v[170:171]
	v_add_f64_e32 v[80:81], v[80:81], v[106:107]
	v_mul_f64_e32 v[106:107], s[34:35], v[120:121]
	s_delay_alu instid0(VALU_DEP_2) | instskip(SKIP_1) | instid1(VALU_DEP_1)
	v_add_f64_e32 v[80:81], v[84:85], v[80:81]
	v_fma_f64 v[84:85], v[130:131], s[20:21], v[176:177]
	v_add_f64_e32 v[82:83], v[84:85], v[82:83]
	v_fma_f64 v[84:85], v[136:137], s[8:9], v[178:179]
	s_delay_alu instid0(VALU_DEP_1) | instskip(SKIP_1) | instid1(VALU_DEP_1)
	v_add_f64_e32 v[80:81], v[84:85], v[80:81]
	v_fma_f64 v[84:85], v[142:143], s[36:37], v[180:181]
	v_add_f64_e32 v[82:83], v[84:85], v[82:83]
	v_fma_f64 v[84:85], v[148:149], s[16:17], v[182:183]
	s_delay_alu instid0(VALU_DEP_1) | instskip(SKIP_1) | instid1(VALU_DEP_1)
	v_add_f64_e32 v[80:81], v[84:85], v[80:81]
	v_fma_f64 v[84:85], v[154:155], s[42:43], v[184:185]
	v_add_f64_e32 v[82:83], v[84:85], v[82:83]
	v_fma_f64 v[84:85], v[160:161], s[18:19], v[186:187]
	s_delay_alu instid0(VALU_DEP_1) | instskip(SKIP_1) | instid1(VALU_DEP_1)
	v_add_f64_e32 v[80:81], v[84:85], v[80:81]
	v_fma_f64 v[84:85], v[166:167], s[44:45], v[188:189]
	v_add_f64_e32 v[82:83], v[84:85], v[82:83]
	v_fma_f64 v[84:85], v[56:57], s[6:7], v[190:191]
	s_delay_alu instid0(VALU_DEP_1) | instskip(SKIP_1) | instid1(VALU_DEP_2)
	v_add_f64_e32 v[84:85], v[84:85], v[92:93]
	v_fma_f64 v[92:93], v[64:65], s[18:19], v[214:215]
	v_add_f64_e32 v[84:85], v[88:89], v[84:85]
	v_fma_f64 v[88:89], v[130:131], s[22:23], v[196:197]
	s_delay_alu instid0(VALU_DEP_1) | instskip(SKIP_1) | instid1(VALU_DEP_1)
	v_add_f64_e32 v[86:87], v[88:89], v[86:87]
	v_fma_f64 v[88:89], v[136:137], s[18:19], v[198:199]
	v_add_f64_e32 v[84:85], v[88:89], v[84:85]
	v_fma_f64 v[88:89], v[142:143], s[44:45], v[200:201]
	s_delay_alu instid0(VALU_DEP_1) | instskip(SKIP_1) | instid1(VALU_DEP_1)
	;; [unrolled: 5-line block ×4, first 2 shown]
	v_add_f64_e32 v[86:87], v[88:89], v[86:87]
	v_fma_f64 v[88:89], v[56:57], s[8:9], v[210:211]
	v_add_f64_e32 v[88:89], v[88:89], v[98:99]
	s_delay_alu instid0(VALU_DEP_1) | instskip(SKIP_1) | instid1(VALU_DEP_1)
	v_add_f64_e32 v[88:89], v[92:93], v[88:89]
	v_fma_f64 v[92:93], v[130:131], s[44:45], v[216:217]
	v_add_f64_e32 v[90:91], v[92:93], v[90:91]
	v_fma_f64 v[92:93], v[136:137], s[16:17], v[218:219]
	s_delay_alu instid0(VALU_DEP_1) | instskip(SKIP_1) | instid1(VALU_DEP_1)
	v_add_f64_e32 v[88:89], v[92:93], v[88:89]
	v_fma_f64 v[92:93], v[142:143], s[34:35], v[220:221]
	v_add_f64_e32 v[90:91], v[92:93], v[90:91]
	v_fma_f64 v[92:93], v[148:149], s[6:7], v[222:223]
	;; [unrolled: 5-line block ×4, first 2 shown]
	s_delay_alu instid0(VALU_DEP_1) | instskip(SKIP_1) | instid1(VALU_DEP_2)
	v_add_f64_e32 v[92:93], v[92:93], v[108:109]
	v_mul_f64_e32 v[108:109], s[16:17], v[122:123]
	v_add_f64_e32 v[92:93], v[96:97], v[92:93]
	s_delay_alu instid0(VALU_DEP_2) | instskip(SKIP_1) | instid1(VALU_DEP_2)
	v_fma_f64 v[94:95], v[60:61], s[42:43], v[108:109]
	v_fma_f64 v[96:97], v[130:131], s[38:39], v[232:233]
	v_add_f64_e32 v[94:95], v[94:95], v[102:103]
	v_mul_f64_e32 v[102:103], s[18:19], v[122:123]
	s_delay_alu instid0(VALU_DEP_2) | instskip(SKIP_1) | instid1(VALU_DEP_3)
	v_add_f64_e32 v[94:95], v[96:97], v[94:95]
	v_fma_f64 v[96:97], v[136:137], s[6:7], v[234:235]
	v_fma_f64 v[98:99], v[60:61], s[44:45], v[102:103]
	;; [unrolled: 1-line block ×3, first 2 shown]
	s_delay_alu instid0(VALU_DEP_3) | instskip(SKIP_1) | instid1(VALU_DEP_4)
	v_add_f64_e32 v[92:93], v[96:97], v[92:93]
	v_fma_f64 v[96:97], v[142:143], s[26:27], v[236:237]
	v_add_f64_e32 v[98:99], v[98:99], v[104:105]
	v_mul_f64_e32 v[104:105], s[36:37], v[124:125]
	v_add_f64_e32 v[102:103], v[102:103], v[118:119]
	s_delay_alu instid0(VALU_DEP_4) | instskip(SKIP_1) | instid1(VALU_DEP_1)
	v_add_f64_e32 v[94:95], v[96:97], v[94:95]
	v_fma_f64 v[96:97], v[148:149], s[18:19], v[238:239]
	v_add_f64_e32 v[92:93], v[96:97], v[92:93]
	v_fma_f64 v[96:97], v[154:155], s[44:45], v[240:241]
	s_delay_alu instid0(VALU_DEP_1) | instskip(SKIP_1) | instid1(VALU_DEP_1)
	v_add_f64_e32 v[94:95], v[96:97], v[94:95]
	v_fma_f64 v[96:97], v[160:161], s[10:11], v[242:243]
	v_add_f64_e32 v[92:93], v[96:97], v[92:93]
	v_fma_f64 v[96:97], v[166:167], s[28:29], v[244:245]
	s_delay_alu instid0(VALU_DEP_1) | instskip(SKIP_2) | instid1(VALU_DEP_2)
	v_add_f64_e32 v[94:95], v[96:97], v[94:95]
	v_fma_f64 v[96:97], v[56:57], s[18:19], v[100:101]
	v_fma_f64 v[100:101], v[56:57], s[18:19], -v[100:101]
	v_add_f64_e32 v[96:97], v[96:97], v[114:115]
	v_fma_f64 v[114:115], v[64:65], s[8:9], v[104:105]
	s_delay_alu instid0(VALU_DEP_3) | instskip(SKIP_1) | instid1(VALU_DEP_3)
	v_add_f64_e32 v[100:101], v[100:101], v[116:117]
	v_fma_f64 v[104:105], v[64:65], s[8:9], -v[104:105]
	v_add_f64_e32 v[96:97], v[114:115], v[96:97]
	v_mul_f64_e32 v[114:115], s[8:9], v[126:127]
	s_delay_alu instid0(VALU_DEP_3) | instskip(NEXT) | instid1(VALU_DEP_2)
	v_add_f64_e32 v[100:101], v[104:105], v[100:101]
	v_fma_f64 v[120:121], v[130:131], s[24:25], v[114:115]
	v_fma_f64 v[104:105], v[130:131], s[36:37], v[114:115]
	s_delay_alu instid0(VALU_DEP_2) | instskip(SKIP_1) | instid1(VALU_DEP_3)
	v_add_f64_e32 v[98:99], v[120:121], v[98:99]
	v_mul_f64_e32 v[120:121], s[38:39], v[134:135]
	v_add_f64_e32 v[102:103], v[104:105], v[102:103]
	s_delay_alu instid0(VALU_DEP_2) | instskip(SKIP_1) | instid1(VALU_DEP_2)
	v_fma_f64 v[122:123], v[136:137], s[14:15], v[120:121]
	v_fma_f64 v[104:105], v[136:137], s[14:15], -v[120:121]
	v_add_f64_e32 v[96:97], v[122:123], v[96:97]
	v_mul_f64_e32 v[122:123], s[14:15], v[140:141]
	s_delay_alu instid0(VALU_DEP_3) | instskip(SKIP_1) | instid1(VALU_DEP_3)
	v_add_f64_e32 v[100:101], v[104:105], v[100:101]
	v_mul_f64_e32 v[140:141], s[16:17], v[164:165]
	v_fma_f64 v[124:125], v[142:143], s[30:31], v[122:123]
	v_fma_f64 v[104:105], v[142:143], s[38:39], v[122:123]
	s_delay_alu instid0(VALU_DEP_3) | instskip(NEXT) | instid1(VALU_DEP_3)
	v_fma_f64 v[114:115], v[166:167], s[34:35], v[140:141]
	v_add_f64_e32 v[98:99], v[124:125], v[98:99]
	v_mul_f64_e32 v[124:125], s[22:23], v[146:147]
	s_delay_alu instid0(VALU_DEP_4) | instskip(NEXT) | instid1(VALU_DEP_2)
	v_add_f64_e32 v[102:103], v[104:105], v[102:103]
	v_fma_f64 v[126:127], v[148:149], s[10:11], v[124:125]
	v_fma_f64 v[104:105], v[148:149], s[10:11], -v[124:125]
	s_delay_alu instid0(VALU_DEP_2) | instskip(SKIP_1) | instid1(VALU_DEP_3)
	v_add_f64_e32 v[96:97], v[126:127], v[96:97]
	v_mul_f64_e32 v[126:127], s[10:11], v[152:153]
	v_add_f64_e32 v[100:101], v[104:105], v[100:101]
	s_delay_alu instid0(VALU_DEP_2) | instskip(SKIP_1) | instid1(VALU_DEP_2)
	v_fma_f64 v[134:135], v[154:155], s[28:29], v[126:127]
	v_fma_f64 v[104:105], v[154:155], s[22:23], v[126:127]
	v_add_f64_e32 v[98:99], v[134:135], v[98:99]
	v_mul_f64_e32 v[134:135], s[34:35], v[158:159]
	s_delay_alu instid0(VALU_DEP_3) | instskip(NEXT) | instid1(VALU_DEP_2)
	v_add_f64_e32 v[102:103], v[104:105], v[102:103]
	v_fma_f64 v[104:105], v[160:161], s[16:17], -v[134:135]
	v_fma_f64 v[146:147], v[160:161], s[16:17], v[134:135]
	s_delay_alu instid0(VALU_DEP_3) | instskip(NEXT) | instid1(VALU_DEP_3)
	v_add_f64_e32 v[102:103], v[114:115], v[102:103]
	v_add_f64_e32 v[100:101], v[104:105], v[100:101]
	v_fma_f64 v[104:105], v[56:57], s[16:17], -v[106:107]
	v_fma_f64 v[106:107], v[60:61], s[34:35], v[108:109]
	v_fma_f64 v[108:109], v[64:65], s[14:15], -v[230:231]
	v_add_f64_e32 v[96:97], v[146:147], v[96:97]
	v_fma_f64 v[146:147], v[166:167], s[42:43], v[140:141]
	v_add_f64_e32 v[104:105], v[104:105], v[110:111]
	v_add_f64_e32 v[106:107], v[106:107], v[112:113]
	v_fma_f64 v[110:111], v[166:167], s[22:23], v[244:245]
	s_delay_alu instid0(VALU_DEP_4) | instskip(NEXT) | instid1(VALU_DEP_4)
	v_add_f64_e32 v[98:99], v[146:147], v[98:99]
	v_add_f64_e32 v[104:105], v[108:109], v[104:105]
	v_fma_f64 v[108:109], v[130:131], s[30:31], v[232:233]
	s_delay_alu instid0(VALU_DEP_1) | instskip(SKIP_1) | instid1(VALU_DEP_1)
	v_add_f64_e32 v[106:107], v[108:109], v[106:107]
	v_fma_f64 v[108:109], v[136:137], s[6:7], -v[234:235]
	v_add_f64_e32 v[104:105], v[108:109], v[104:105]
	v_fma_f64 v[108:109], v[142:143], s[20:21], v[236:237]
	s_delay_alu instid0(VALU_DEP_1) | instskip(SKIP_1) | instid1(VALU_DEP_1)
	v_add_f64_e32 v[106:107], v[108:109], v[106:107]
	v_fma_f64 v[108:109], v[148:149], s[18:19], -v[238:239]
	v_add_f64_e32 v[104:105], v[108:109], v[104:105]
	v_fma_f64 v[108:109], v[154:155], s[40:41], v[240:241]
	s_delay_alu instid0(VALU_DEP_1) | instskip(SKIP_1) | instid1(VALU_DEP_2)
	v_add_f64_e32 v[106:107], v[108:109], v[106:107]
	v_fma_f64 v[108:109], v[160:161], s[10:11], -v[242:243]
	v_add_f64_e32 v[106:107], v[110:111], v[106:107]
	s_delay_alu instid0(VALU_DEP_2) | instskip(SKIP_2) | instid1(VALU_DEP_2)
	v_add_f64_e32 v[104:105], v[108:109], v[104:105]
	v_fma_f64 v[108:109], v[56:57], s[8:9], -v[210:211]
	v_fma_f64 v[110:111], v[166:167], s[38:39], v[228:229]
	v_add_f64_e32 v[74:75], v[108:109], v[74:75]
	v_fma_f64 v[108:109], v[60:61], s[24:25], v[212:213]
	s_delay_alu instid0(VALU_DEP_1) | instskip(SKIP_1) | instid1(VALU_DEP_1)
	v_add_f64_e32 v[72:73], v[108:109], v[72:73]
	v_fma_f64 v[108:109], v[64:65], s[18:19], -v[214:215]
	v_add_f64_e32 v[74:75], v[108:109], v[74:75]
	v_fma_f64 v[108:109], v[130:131], s[40:41], v[216:217]
	s_delay_alu instid0(VALU_DEP_1) | instskip(SKIP_1) | instid1(VALU_DEP_1)
	v_add_f64_e32 v[72:73], v[108:109], v[72:73]
	v_fma_f64 v[108:109], v[136:137], s[16:17], -v[218:219]
	;; [unrolled: 5-line block ×4, first 2 shown]
	v_add_f64_e32 v[72:73], v[72:73], v[74:75]
	s_delay_alu instid0(VALU_DEP_3) | instskip(SKIP_2) | instid1(VALU_DEP_2)
	v_add_f64_e32 v[74:75], v[110:111], v[108:109]
	v_fma_f64 v[108:109], v[56:57], s[6:7], -v[190:191]
	v_fma_f64 v[110:111], v[166:167], s[36:37], v[208:209]
	v_add_f64_e32 v[70:71], v[108:109], v[70:71]
	v_fma_f64 v[108:109], v[60:61], s[26:27], v[192:193]
	s_delay_alu instid0(VALU_DEP_1) | instskip(SKIP_1) | instid1(VALU_DEP_1)
	v_add_f64_e32 v[68:69], v[108:109], v[68:69]
	v_fma_f64 v[108:109], v[64:65], s[10:11], -v[194:195]
	v_add_f64_e32 v[70:71], v[108:109], v[70:71]
	v_fma_f64 v[108:109], v[130:131], s[28:29], v[196:197]
	s_delay_alu instid0(VALU_DEP_1) | instskip(SKIP_1) | instid1(VALU_DEP_1)
	v_add_f64_e32 v[68:69], v[108:109], v[68:69]
	v_fma_f64 v[108:109], v[136:137], s[18:19], -v[198:199]
	;; [unrolled: 5-line block ×4, first 2 shown]
	v_add_f64_e32 v[68:69], v[68:69], v[70:71]
	s_delay_alu instid0(VALU_DEP_3) | instskip(SKIP_4) | instid1(VALU_DEP_4)
	v_add_f64_e32 v[70:71], v[110:111], v[108:109]
	v_fma_f64 v[108:109], v[56:57], s[10:11], -v[170:171]
	v_fma_f64 v[56:57], v[56:57], s[14:15], v[58:59]
	v_fma_f64 v[58:59], v[60:61], s[38:39], v[62:63]
	;; [unrolled: 1-line block ×3, first 2 shown]
	v_add_f64_e32 v[54:55], v[108:109], v[54:55]
	v_fma_f64 v[108:109], v[60:61], s[22:23], v[172:173]
	v_fma_f64 v[60:61], v[64:65], s[16:17], v[66:67]
	v_add_f64_e32 v[48:49], v[56:57], v[48:49]
	v_fma_f64 v[56:57], v[130:131], s[34:35], v[132:133]
	v_add_f64_e32 v[50:51], v[58:59], v[50:51]
	;; [unrolled: 2-line block ×3, first 2 shown]
	v_fma_f64 v[108:109], v[64:65], s[6:7], -v[174:175]
	v_add_f64_e32 v[48:49], v[60:61], v[48:49]
	v_fma_f64 v[60:61], v[142:143], s[28:29], v[144:145]
	v_add_f64_e32 v[50:51], v[56:57], v[50:51]
	v_fma_f64 v[56:57], v[148:149], s[8:9], v[150:151]
	;; [unrolled: 2-line block ×5, first 2 shown]
	s_and_b32 s6, exec_lo, vcc_lo
	v_add_f64_e32 v[52:53], v[108:109], v[52:53]
	v_fma_f64 v[108:109], v[136:137], s[8:9], -v[178:179]
	v_add_f64_e32 v[48:49], v[56:57], v[48:49]
	v_fma_f64 v[56:57], v[166:167], s[20:21], v[168:169]
	v_add_f64_e32 v[50:51], v[58:59], v[50:51]
	s_delay_alu instid0(VALU_DEP_4) | instskip(SKIP_2) | instid1(VALU_DEP_4)
	v_add_f64_e32 v[54:55], v[108:109], v[54:55]
	v_fma_f64 v[108:109], v[142:143], s[24:25], v[180:181]
	v_add_f64_e32 v[48:49], v[60:61], v[48:49]
	v_add_f64_e32 v[50:51], v[56:57], v[50:51]
	s_delay_alu instid0(VALU_DEP_3) | instskip(SKIP_1) | instid1(VALU_DEP_1)
	v_add_f64_e32 v[52:53], v[108:109], v[52:53]
	v_fma_f64 v[108:109], v[148:149], s[16:17], -v[182:183]
	v_add_f64_e32 v[54:55], v[108:109], v[54:55]
	v_fma_f64 v[108:109], v[154:155], s[34:35], v[184:185]
	s_delay_alu instid0(VALU_DEP_1) | instskip(SKIP_1) | instid1(VALU_DEP_1)
	v_add_f64_e32 v[108:109], v[108:109], v[52:53]
	v_fma_f64 v[52:53], v[160:161], s[18:19], -v[186:187]
	v_add_f64_e32 v[52:53], v[52:53], v[54:55]
	s_delay_alu instid0(VALU_DEP_3)
	v_add_f64_e32 v[54:55], v[110:111], v[108:109]
	ds_store_b128 v129, v[80:83] offset:544
	ds_store_b128 v129, v[84:87] offset:816
	;; [unrolled: 1-line block ×12, first 2 shown]
	ds_store_b128 v129, v[2:5]
	global_wb scope:SCOPE_SE
	s_wait_dscnt 0x0
	s_barrier_signal -1
	s_barrier_wait -1
	global_inv scope:SCOPE_SE
	scratch_load_b64 v[14:15], off, off     ; 8-byte Folded Reload
	s_wait_alu 0xfffe
	s_mov_b32 exec_lo, s6
	s_cbranch_execz .LBB0_15
; %bb.14:
	v_lshlrev_b32_e32 v18, 4, v254
	s_mov_b32 s6, 0x1288b013
	s_mov_b32 s7, 0x3f7288b0
	global_load_b128 v[0:3], v18, s[4:5]
	ds_load_b128 v[4:7], v129
	ds_load_b128 v[8:11], v129 offset:208
	s_wait_loadcnt_dscnt 0x1
	v_mul_f64_e32 v[12:13], v[6:7], v[2:3]
	v_mul_f64_e32 v[2:3], v[4:5], v[2:3]
	s_delay_alu instid0(VALU_DEP_2) | instskip(NEXT) | instid1(VALU_DEP_2)
	v_fma_f64 v[4:5], v[4:5], v[0:1], v[12:13]
	v_fma_f64 v[0:1], v[0:1], v[6:7], -v[2:3]
	v_mad_co_u64_u32 v[6:7], null, s2, v14, 0
	v_mad_co_u64_u32 v[12:13], null, s0, v254, 0
	s_wait_alu 0xfffe
	s_delay_alu instid0(VALU_DEP_4) | instskip(NEXT) | instid1(VALU_DEP_4)
	v_mul_f64_e32 v[2:3], s[6:7], v[4:5]
	v_mul_f64_e32 v[4:5], s[6:7], v[0:1]
	s_delay_alu instid0(VALU_DEP_3) | instskip(NEXT) | instid1(VALU_DEP_1)
	v_dual_mov_b32 v1, v13 :: v_dual_mov_b32 v0, v7
	v_mad_co_u64_u32 v[13:14], null, s3, v14, v[0:1]
	s_mul_u64 s[2:3], s[0:1], 0xd0
	s_delay_alu instid0(VALU_DEP_1) | instskip(SKIP_1) | instid1(VALU_DEP_1)
	v_mov_b32_e32 v7, v13
	v_mad_co_u64_u32 v[0:1], null, s1, v254, v[1:2]
	v_mov_b32_e32 v13, v0
	s_delay_alu instid0(VALU_DEP_3) | instskip(NEXT) | instid1(VALU_DEP_2)
	v_lshlrev_b64_e32 v[0:1], 4, v[6:7]
	v_lshlrev_b64_e32 v[6:7], 4, v[12:13]
	s_delay_alu instid0(VALU_DEP_2) | instskip(NEXT) | instid1(VALU_DEP_3)
	v_add_co_u32 v0, vcc_lo, s12, v0
	v_add_co_ci_u32_e32 v1, vcc_lo, s13, v1, vcc_lo
	s_delay_alu instid0(VALU_DEP_2) | instskip(SKIP_1) | instid1(VALU_DEP_2)
	v_add_co_u32 v6, vcc_lo, v0, v6
	s_wait_alu 0xfffd
	v_add_co_ci_u32_e32 v7, vcc_lo, v1, v7, vcc_lo
	s_wait_alu 0xfffe
	s_delay_alu instid0(VALU_DEP_2)
	v_add_co_u32 v14, vcc_lo, v6, s2
	global_store_b128 v[6:7], v[2:5], off
	global_load_b128 v[2:5], v18, s[4:5] offset:208
	s_wait_alu 0xfffd
	v_add_co_ci_u32_e32 v15, vcc_lo, s3, v7, vcc_lo
	s_wait_loadcnt_dscnt 0x0
	v_mul_f64_e32 v[12:13], v[10:11], v[4:5]
	v_mul_f64_e32 v[4:5], v[8:9], v[4:5]
	s_delay_alu instid0(VALU_DEP_2) | instskip(NEXT) | instid1(VALU_DEP_2)
	v_fma_f64 v[8:9], v[8:9], v[2:3], v[12:13]
	v_fma_f64 v[4:5], v[2:3], v[10:11], -v[4:5]
	s_delay_alu instid0(VALU_DEP_2) | instskip(NEXT) | instid1(VALU_DEP_2)
	v_mul_f64_e32 v[2:3], s[6:7], v[8:9]
	v_mul_f64_e32 v[4:5], s[6:7], v[4:5]
	global_store_b128 v[14:15], v[2:5], off
	global_load_b128 v[2:5], v18, s[4:5] offset:416
	ds_load_b128 v[6:9], v129 offset:416
	ds_load_b128 v[10:13], v129 offset:624
	s_wait_loadcnt_dscnt 0x1
	v_mul_f64_e32 v[16:17], v[8:9], v[4:5]
	v_mul_f64_e32 v[4:5], v[6:7], v[4:5]
	s_delay_alu instid0(VALU_DEP_2) | instskip(NEXT) | instid1(VALU_DEP_2)
	v_fma_f64 v[6:7], v[6:7], v[2:3], v[16:17]
	v_fma_f64 v[4:5], v[2:3], v[8:9], -v[4:5]
	s_delay_alu instid0(VALU_DEP_2) | instskip(NEXT) | instid1(VALU_DEP_2)
	v_mul_f64_e32 v[2:3], s[6:7], v[6:7]
	v_mul_f64_e32 v[4:5], s[6:7], v[4:5]
	v_add_co_u32 v6, vcc_lo, v14, s2
	s_wait_alu 0xfffd
	v_add_co_ci_u32_e32 v7, vcc_lo, s3, v15, vcc_lo
	s_delay_alu instid0(VALU_DEP_2) | instskip(SKIP_1) | instid1(VALU_DEP_2)
	v_add_co_u32 v14, vcc_lo, v6, s2
	s_wait_alu 0xfffd
	v_add_co_ci_u32_e32 v15, vcc_lo, s3, v7, vcc_lo
	global_store_b128 v[6:7], v[2:5], off
	global_load_b128 v[2:5], v18, s[4:5] offset:624
	s_wait_loadcnt_dscnt 0x0
	v_mul_f64_e32 v[8:9], v[12:13], v[4:5]
	v_mul_f64_e32 v[4:5], v[10:11], v[4:5]
	s_delay_alu instid0(VALU_DEP_2) | instskip(NEXT) | instid1(VALU_DEP_2)
	v_fma_f64 v[8:9], v[10:11], v[2:3], v[8:9]
	v_fma_f64 v[4:5], v[2:3], v[12:13], -v[4:5]
	s_delay_alu instid0(VALU_DEP_2) | instskip(NEXT) | instid1(VALU_DEP_2)
	v_mul_f64_e32 v[2:3], s[6:7], v[8:9]
	v_mul_f64_e32 v[4:5], s[6:7], v[4:5]
	global_store_b128 v[14:15], v[2:5], off
	global_load_b128 v[2:5], v18, s[4:5] offset:832
	ds_load_b128 v[6:9], v129 offset:832
	ds_load_b128 v[10:13], v129 offset:1040
	s_wait_loadcnt_dscnt 0x1
	v_mul_f64_e32 v[16:17], v[8:9], v[4:5]
	v_mul_f64_e32 v[4:5], v[6:7], v[4:5]
	s_delay_alu instid0(VALU_DEP_2) | instskip(NEXT) | instid1(VALU_DEP_2)
	v_fma_f64 v[6:7], v[6:7], v[2:3], v[16:17]
	v_fma_f64 v[4:5], v[2:3], v[8:9], -v[4:5]
	s_delay_alu instid0(VALU_DEP_2) | instskip(NEXT) | instid1(VALU_DEP_2)
	v_mul_f64_e32 v[2:3], s[6:7], v[6:7]
	v_mul_f64_e32 v[4:5], s[6:7], v[4:5]
	v_add_co_u32 v6, vcc_lo, v14, s2
	s_wait_alu 0xfffd
	v_add_co_ci_u32_e32 v7, vcc_lo, s3, v15, vcc_lo
	s_delay_alu instid0(VALU_DEP_2) | instskip(SKIP_1) | instid1(VALU_DEP_2)
	v_add_co_u32 v14, vcc_lo, v6, s2
	s_wait_alu 0xfffd
	v_add_co_ci_u32_e32 v15, vcc_lo, s3, v7, vcc_lo
	global_store_b128 v[6:7], v[2:5], off
	global_load_b128 v[2:5], v18, s[4:5] offset:1040
	;; [unrolled: 31-line block ×6, first 2 shown]
	s_wait_loadcnt_dscnt 0x0
	v_mul_f64_e32 v[8:9], v[12:13], v[4:5]
	v_mul_f64_e32 v[4:5], v[10:11], v[4:5]
	s_delay_alu instid0(VALU_DEP_2) | instskip(NEXT) | instid1(VALU_DEP_2)
	v_fma_f64 v[8:9], v[10:11], v[2:3], v[8:9]
	v_fma_f64 v[4:5], v[2:3], v[12:13], -v[4:5]
	s_delay_alu instid0(VALU_DEP_2) | instskip(NEXT) | instid1(VALU_DEP_2)
	v_mul_f64_e32 v[2:3], s[6:7], v[8:9]
	v_mul_f64_e32 v[4:5], s[6:7], v[4:5]
	global_store_b128 v[14:15], v[2:5], off
	global_load_b128 v[2:5], v18, s[4:5] offset:2912
	ds_load_b128 v[6:9], v129 offset:2912
	ds_load_b128 v[10:13], v129 offset:3120
	s_wait_loadcnt_dscnt 0x1
	v_mul_f64_e32 v[16:17], v[8:9], v[4:5]
	v_mul_f64_e32 v[4:5], v[6:7], v[4:5]
	s_delay_alu instid0(VALU_DEP_2) | instskip(NEXT) | instid1(VALU_DEP_2)
	v_fma_f64 v[6:7], v[6:7], v[2:3], v[16:17]
	v_fma_f64 v[4:5], v[2:3], v[8:9], -v[4:5]
	s_delay_alu instid0(VALU_DEP_2) | instskip(NEXT) | instid1(VALU_DEP_2)
	v_mul_f64_e32 v[2:3], s[6:7], v[6:7]
	v_mul_f64_e32 v[4:5], s[6:7], v[4:5]
	v_add_co_u32 v6, vcc_lo, v14, s2
	s_wait_alu 0xfffd
	v_add_co_ci_u32_e32 v7, vcc_lo, s3, v15, vcc_lo
	global_store_b128 v[6:7], v[2:5], off
	global_load_b128 v[2:5], v18, s[4:5] offset:3120
	v_add_co_u32 v6, vcc_lo, v6, s2
	s_wait_alu 0xfffd
	v_add_co_ci_u32_e32 v7, vcc_lo, s3, v7, vcc_lo
	s_wait_loadcnt_dscnt 0x0
	v_mul_f64_e32 v[8:9], v[12:13], v[4:5]
	v_mul_f64_e32 v[4:5], v[10:11], v[4:5]
	s_delay_alu instid0(VALU_DEP_2) | instskip(NEXT) | instid1(VALU_DEP_2)
	v_fma_f64 v[8:9], v[10:11], v[2:3], v[8:9]
	v_fma_f64 v[4:5], v[2:3], v[12:13], -v[4:5]
	s_delay_alu instid0(VALU_DEP_2) | instskip(NEXT) | instid1(VALU_DEP_2)
	v_mul_f64_e32 v[2:3], s[6:7], v[8:9]
	v_mul_f64_e32 v[4:5], s[6:7], v[4:5]
	global_store_b128 v[6:7], v[2:5], off
	global_load_b128 v[2:5], v18, s[4:5] offset:3328
	ds_load_b128 v[6:9], v129 offset:3328
	s_wait_loadcnt_dscnt 0x0
	v_mul_f64_e32 v[10:11], v[8:9], v[4:5]
	v_mul_f64_e32 v[4:5], v[6:7], v[4:5]
	s_delay_alu instid0(VALU_DEP_2) | instskip(SKIP_3) | instid1(VALU_DEP_2)
	v_fma_f64 v[6:7], v[6:7], v[2:3], v[10:11]
	scratch_load_b32 v10, off, off offset:220 th:TH_LOAD_LU ; 4-byte Folded Reload
	v_fma_f64 v[4:5], v[2:3], v[8:9], -v[4:5]
	v_mul_f64_e32 v[2:3], s[6:7], v[6:7]
	v_mul_f64_e32 v[4:5], s[6:7], v[4:5]
	s_wait_loadcnt 0x0
	v_mad_co_u64_u32 v[8:9], null, s0, v10, 0
	s_delay_alu instid0(VALU_DEP_1) | instskip(NEXT) | instid1(VALU_DEP_1)
	v_mov_b32_e32 v6, v9
	v_mad_co_u64_u32 v[6:7], null, s1, v10, v[6:7]
	s_delay_alu instid0(VALU_DEP_1) | instskip(NEXT) | instid1(VALU_DEP_1)
	v_mov_b32_e32 v9, v6
	v_lshlrev_b64_e32 v[6:7], 4, v[8:9]
	s_delay_alu instid0(VALU_DEP_1) | instskip(SKIP_1) | instid1(VALU_DEP_2)
	v_add_co_u32 v0, vcc_lo, v0, v6
	s_wait_alu 0xfffd
	v_add_co_ci_u32_e32 v1, vcc_lo, v1, v7, vcc_lo
	global_store_b128 v[0:1], v[2:5], off
.LBB0_15:
	s_nop 0
	s_sendmsg sendmsg(MSG_DEALLOC_VGPRS)
	s_endpgm
	.section	.rodata,"a",@progbits
	.p2align	6, 0x0
	.amdhsa_kernel bluestein_single_fwd_len221_dim1_dp_op_CI_CI
		.amdhsa_group_segment_fixed_size 24752
		.amdhsa_private_segment_fixed_size 284
		.amdhsa_kernarg_size 104
		.amdhsa_user_sgpr_count 2
		.amdhsa_user_sgpr_dispatch_ptr 0
		.amdhsa_user_sgpr_queue_ptr 0
		.amdhsa_user_sgpr_kernarg_segment_ptr 1
		.amdhsa_user_sgpr_dispatch_id 0
		.amdhsa_user_sgpr_private_segment_size 0
		.amdhsa_wavefront_size32 1
		.amdhsa_uses_dynamic_stack 0
		.amdhsa_enable_private_segment 1
		.amdhsa_system_sgpr_workgroup_id_x 1
		.amdhsa_system_sgpr_workgroup_id_y 0
		.amdhsa_system_sgpr_workgroup_id_z 0
		.amdhsa_system_sgpr_workgroup_info 0
		.amdhsa_system_vgpr_workitem_id 0
		.amdhsa_next_free_vgpr 256
		.amdhsa_next_free_sgpr 58
		.amdhsa_reserve_vcc 1
		.amdhsa_float_round_mode_32 0
		.amdhsa_float_round_mode_16_64 0
		.amdhsa_float_denorm_mode_32 3
		.amdhsa_float_denorm_mode_16_64 3
		.amdhsa_fp16_overflow 0
		.amdhsa_workgroup_processor_mode 1
		.amdhsa_memory_ordered 1
		.amdhsa_forward_progress 0
		.amdhsa_round_robin_scheduling 0
		.amdhsa_exception_fp_ieee_invalid_op 0
		.amdhsa_exception_fp_denorm_src 0
		.amdhsa_exception_fp_ieee_div_zero 0
		.amdhsa_exception_fp_ieee_overflow 0
		.amdhsa_exception_fp_ieee_underflow 0
		.amdhsa_exception_fp_ieee_inexact 0
		.amdhsa_exception_int_div_zero 0
	.end_amdhsa_kernel
	.text
.Lfunc_end0:
	.size	bluestein_single_fwd_len221_dim1_dp_op_CI_CI, .Lfunc_end0-bluestein_single_fwd_len221_dim1_dp_op_CI_CI
                                        ; -- End function
	.section	.AMDGPU.csdata,"",@progbits
; Kernel info:
; codeLenInByte = 23596
; NumSgprs: 60
; NumVgprs: 256
; ScratchSize: 284
; MemoryBound: 0
; FloatMode: 240
; IeeeMode: 1
; LDSByteSize: 24752 bytes/workgroup (compile time only)
; SGPRBlocks: 7
; VGPRBlocks: 31
; NumSGPRsForWavesPerEU: 60
; NumVGPRsForWavesPerEU: 256
; Occupancy: 5
; WaveLimiterHint : 1
; COMPUTE_PGM_RSRC2:SCRATCH_EN: 1
; COMPUTE_PGM_RSRC2:USER_SGPR: 2
; COMPUTE_PGM_RSRC2:TRAP_HANDLER: 0
; COMPUTE_PGM_RSRC2:TGID_X_EN: 1
; COMPUTE_PGM_RSRC2:TGID_Y_EN: 0
; COMPUTE_PGM_RSRC2:TGID_Z_EN: 0
; COMPUTE_PGM_RSRC2:TIDIG_COMP_CNT: 0
	.text
	.p2alignl 7, 3214868480
	.fill 96, 4, 3214868480
	.type	__hip_cuid_a6266a2aded82c31,@object ; @__hip_cuid_a6266a2aded82c31
	.section	.bss,"aw",@nobits
	.globl	__hip_cuid_a6266a2aded82c31
__hip_cuid_a6266a2aded82c31:
	.byte	0                               ; 0x0
	.size	__hip_cuid_a6266a2aded82c31, 1

	.ident	"AMD clang version 19.0.0git (https://github.com/RadeonOpenCompute/llvm-project roc-6.4.0 25133 c7fe45cf4b819c5991fe208aaa96edf142730f1d)"
	.section	".note.GNU-stack","",@progbits
	.addrsig
	.addrsig_sym __hip_cuid_a6266a2aded82c31
	.amdgpu_metadata
---
amdhsa.kernels:
  - .args:
      - .actual_access:  read_only
        .address_space:  global
        .offset:         0
        .size:           8
        .value_kind:     global_buffer
      - .actual_access:  read_only
        .address_space:  global
        .offset:         8
        .size:           8
        .value_kind:     global_buffer
      - .actual_access:  read_only
        .address_space:  global
        .offset:         16
        .size:           8
        .value_kind:     global_buffer
      - .actual_access:  read_only
        .address_space:  global
        .offset:         24
        .size:           8
        .value_kind:     global_buffer
      - .actual_access:  read_only
        .address_space:  global
        .offset:         32
        .size:           8
        .value_kind:     global_buffer
      - .offset:         40
        .size:           8
        .value_kind:     by_value
      - .address_space:  global
        .offset:         48
        .size:           8
        .value_kind:     global_buffer
      - .address_space:  global
        .offset:         56
        .size:           8
        .value_kind:     global_buffer
      - .address_space:  global
        .offset:         64
        .size:           8
        .value_kind:     global_buffer
      - .address_space:  global
        .offset:         72
        .size:           8
        .value_kind:     global_buffer
      - .offset:         80
        .size:           4
        .value_kind:     by_value
      - .address_space:  global
        .offset:         88
        .size:           8
        .value_kind:     global_buffer
      - .address_space:  global
        .offset:         96
        .size:           8
        .value_kind:     global_buffer
    .group_segment_fixed_size: 24752
    .kernarg_segment_align: 8
    .kernarg_segment_size: 104
    .language:       OpenCL C
    .language_version:
      - 2
      - 0
    .max_flat_workgroup_size: 119
    .name:           bluestein_single_fwd_len221_dim1_dp_op_CI_CI
    .private_segment_fixed_size: 284
    .sgpr_count:     60
    .sgpr_spill_count: 0
    .symbol:         bluestein_single_fwd_len221_dim1_dp_op_CI_CI.kd
    .uniform_work_group_size: 1
    .uses_dynamic_stack: false
    .vgpr_count:     256
    .vgpr_spill_count: 125
    .wavefront_size: 32
    .workgroup_processor_mode: 1
amdhsa.target:   amdgcn-amd-amdhsa--gfx1201
amdhsa.version:
  - 1
  - 2
...

	.end_amdgpu_metadata
